;; amdgpu-corpus repo=ROCm/rocFFT kind=compiled arch=gfx906 opt=O3
	.text
	.amdgcn_target "amdgcn-amd-amdhsa--gfx906"
	.amdhsa_code_object_version 6
	.protected	fft_rtc_back_len3600_factors_10_10_6_6_wgs_120_tpt_120_halfLds_half_ip_CI_sbrr_dirReg ; -- Begin function fft_rtc_back_len3600_factors_10_10_6_6_wgs_120_tpt_120_halfLds_half_ip_CI_sbrr_dirReg
	.globl	fft_rtc_back_len3600_factors_10_10_6_6_wgs_120_tpt_120_halfLds_half_ip_CI_sbrr_dirReg
	.p2align	8
	.type	fft_rtc_back_len3600_factors_10_10_6_6_wgs_120_tpt_120_halfLds_half_ip_CI_sbrr_dirReg,@function
fft_rtc_back_len3600_factors_10_10_6_6_wgs_120_tpt_120_halfLds_half_ip_CI_sbrr_dirReg: ; @fft_rtc_back_len3600_factors_10_10_6_6_wgs_120_tpt_120_halfLds_half_ip_CI_sbrr_dirReg
; %bb.0:
	s_load_dwordx2 s[14:15], s[4:5], 0x18
	s_load_dwordx4 s[8:11], s[4:5], 0x0
	s_load_dwordx2 s[12:13], s[4:5], 0x50
	v_mul_u32_u24_e32 v1, 0x223, v0
	v_add_u32_sdwa v5, s6, v1 dst_sel:DWORD dst_unused:UNUSED_PAD src0_sel:DWORD src1_sel:WORD_1
	s_waitcnt lgkmcnt(0)
	s_load_dwordx2 s[2:3], s[14:15], 0x0
	v_cmp_lt_u64_e64 s[0:1], s[10:11], 2
	v_mov_b32_e32 v3, 0
	v_mov_b32_e32 v1, 0
	;; [unrolled: 1-line block ×3, first 2 shown]
	s_and_b64 vcc, exec, s[0:1]
	v_mov_b32_e32 v2, 0
	s_cbranch_vccnz .LBB0_8
; %bb.1:
	s_load_dwordx2 s[0:1], s[4:5], 0x10
	s_add_u32 s6, s14, 8
	s_addc_u32 s7, s15, 0
	v_mov_b32_e32 v1, 0
	v_mov_b32_e32 v2, 0
	s_waitcnt lgkmcnt(0)
	s_add_u32 s16, s0, 8
	s_addc_u32 s17, s1, 0
	s_mov_b64 s[18:19], 1
.LBB0_2:                                ; =>This Inner Loop Header: Depth=1
	s_load_dwordx2 s[20:21], s[16:17], 0x0
                                        ; implicit-def: $vgpr7_vgpr8
	s_waitcnt lgkmcnt(0)
	v_or_b32_e32 v4, s21, v6
	v_cmp_ne_u64_e32 vcc, 0, v[3:4]
	s_and_saveexec_b64 s[0:1], vcc
	s_xor_b64 s[22:23], exec, s[0:1]
	s_cbranch_execz .LBB0_4
; %bb.3:                                ;   in Loop: Header=BB0_2 Depth=1
	v_cvt_f32_u32_e32 v4, s20
	v_cvt_f32_u32_e32 v7, s21
	s_sub_u32 s0, 0, s20
	s_subb_u32 s1, 0, s21
	v_mac_f32_e32 v4, 0x4f800000, v7
	v_rcp_f32_e32 v4, v4
	v_mul_f32_e32 v4, 0x5f7ffffc, v4
	v_mul_f32_e32 v7, 0x2f800000, v4
	v_trunc_f32_e32 v7, v7
	v_mac_f32_e32 v4, 0xcf800000, v7
	v_cvt_u32_f32_e32 v7, v7
	v_cvt_u32_f32_e32 v4, v4
	v_mul_lo_u32 v8, s0, v7
	v_mul_hi_u32 v9, s0, v4
	v_mul_lo_u32 v11, s1, v4
	v_mul_lo_u32 v10, s0, v4
	v_add_u32_e32 v8, v9, v8
	v_add_u32_e32 v8, v8, v11
	v_mul_hi_u32 v9, v4, v10
	v_mul_lo_u32 v11, v4, v8
	v_mul_hi_u32 v13, v4, v8
	v_mul_hi_u32 v12, v7, v10
	v_mul_lo_u32 v10, v7, v10
	v_mul_hi_u32 v14, v7, v8
	v_add_co_u32_e32 v9, vcc, v9, v11
	v_addc_co_u32_e32 v11, vcc, 0, v13, vcc
	v_mul_lo_u32 v8, v7, v8
	v_add_co_u32_e32 v9, vcc, v9, v10
	v_addc_co_u32_e32 v9, vcc, v11, v12, vcc
	v_addc_co_u32_e32 v10, vcc, 0, v14, vcc
	v_add_co_u32_e32 v8, vcc, v9, v8
	v_addc_co_u32_e32 v9, vcc, 0, v10, vcc
	v_add_co_u32_e32 v4, vcc, v4, v8
	v_addc_co_u32_e32 v7, vcc, v7, v9, vcc
	v_mul_lo_u32 v8, s0, v7
	v_mul_hi_u32 v9, s0, v4
	v_mul_lo_u32 v10, s1, v4
	v_mul_lo_u32 v11, s0, v4
	v_add_u32_e32 v8, v9, v8
	v_add_u32_e32 v8, v8, v10
	v_mul_lo_u32 v12, v4, v8
	v_mul_hi_u32 v13, v4, v11
	v_mul_hi_u32 v14, v4, v8
	;; [unrolled: 1-line block ×3, first 2 shown]
	v_mul_lo_u32 v11, v7, v11
	v_mul_hi_u32 v9, v7, v8
	v_add_co_u32_e32 v12, vcc, v13, v12
	v_addc_co_u32_e32 v13, vcc, 0, v14, vcc
	v_mul_lo_u32 v8, v7, v8
	v_add_co_u32_e32 v11, vcc, v12, v11
	v_addc_co_u32_e32 v10, vcc, v13, v10, vcc
	v_addc_co_u32_e32 v9, vcc, 0, v9, vcc
	v_add_co_u32_e32 v8, vcc, v10, v8
	v_addc_co_u32_e32 v9, vcc, 0, v9, vcc
	v_add_co_u32_e32 v4, vcc, v4, v8
	v_addc_co_u32_e32 v9, vcc, v7, v9, vcc
	v_mad_u64_u32 v[7:8], s[0:1], v5, v9, 0
	v_mul_hi_u32 v10, v5, v4
	v_add_co_u32_e32 v11, vcc, v10, v7
	v_addc_co_u32_e32 v12, vcc, 0, v8, vcc
	v_mad_u64_u32 v[7:8], s[0:1], v6, v4, 0
	v_mad_u64_u32 v[9:10], s[0:1], v6, v9, 0
	v_add_co_u32_e32 v4, vcc, v11, v7
	v_addc_co_u32_e32 v4, vcc, v12, v8, vcc
	v_addc_co_u32_e32 v7, vcc, 0, v10, vcc
	v_add_co_u32_e32 v4, vcc, v4, v9
	v_addc_co_u32_e32 v9, vcc, 0, v7, vcc
	v_mul_lo_u32 v10, s21, v4
	v_mul_lo_u32 v11, s20, v9
	v_mad_u64_u32 v[7:8], s[0:1], s20, v4, 0
	v_add3_u32 v8, v8, v11, v10
	v_sub_u32_e32 v10, v6, v8
	v_mov_b32_e32 v11, s21
	v_sub_co_u32_e32 v7, vcc, v5, v7
	v_subb_co_u32_e64 v10, s[0:1], v10, v11, vcc
	v_subrev_co_u32_e64 v11, s[0:1], s20, v7
	v_subbrev_co_u32_e64 v10, s[0:1], 0, v10, s[0:1]
	v_cmp_le_u32_e64 s[0:1], s21, v10
	v_cndmask_b32_e64 v12, 0, -1, s[0:1]
	v_cmp_le_u32_e64 s[0:1], s20, v11
	v_cndmask_b32_e64 v11, 0, -1, s[0:1]
	v_cmp_eq_u32_e64 s[0:1], s21, v10
	v_cndmask_b32_e64 v10, v12, v11, s[0:1]
	v_add_co_u32_e64 v11, s[0:1], 2, v4
	v_addc_co_u32_e64 v12, s[0:1], 0, v9, s[0:1]
	v_add_co_u32_e64 v13, s[0:1], 1, v4
	v_addc_co_u32_e64 v14, s[0:1], 0, v9, s[0:1]
	v_subb_co_u32_e32 v8, vcc, v6, v8, vcc
	v_cmp_ne_u32_e64 s[0:1], 0, v10
	v_cmp_le_u32_e32 vcc, s21, v8
	v_cndmask_b32_e64 v10, v14, v12, s[0:1]
	v_cndmask_b32_e64 v12, 0, -1, vcc
	v_cmp_le_u32_e32 vcc, s20, v7
	v_cndmask_b32_e64 v7, 0, -1, vcc
	v_cmp_eq_u32_e32 vcc, s21, v8
	v_cndmask_b32_e32 v7, v12, v7, vcc
	v_cmp_ne_u32_e32 vcc, 0, v7
	v_cndmask_b32_e64 v7, v13, v11, s[0:1]
	v_cndmask_b32_e32 v8, v9, v10, vcc
	v_cndmask_b32_e32 v7, v4, v7, vcc
.LBB0_4:                                ;   in Loop: Header=BB0_2 Depth=1
	s_andn2_saveexec_b64 s[0:1], s[22:23]
	s_cbranch_execz .LBB0_6
; %bb.5:                                ;   in Loop: Header=BB0_2 Depth=1
	v_cvt_f32_u32_e32 v4, s20
	s_sub_i32 s22, 0, s20
	v_rcp_iflag_f32_e32 v4, v4
	v_mul_f32_e32 v4, 0x4f7ffffe, v4
	v_cvt_u32_f32_e32 v4, v4
	v_mul_lo_u32 v7, s22, v4
	v_mul_hi_u32 v7, v4, v7
	v_add_u32_e32 v4, v4, v7
	v_mul_hi_u32 v4, v5, v4
	v_mul_lo_u32 v7, v4, s20
	v_add_u32_e32 v8, 1, v4
	v_sub_u32_e32 v7, v5, v7
	v_subrev_u32_e32 v9, s20, v7
	v_cmp_le_u32_e32 vcc, s20, v7
	v_cndmask_b32_e32 v7, v7, v9, vcc
	v_cndmask_b32_e32 v4, v4, v8, vcc
	v_add_u32_e32 v8, 1, v4
	v_cmp_le_u32_e32 vcc, s20, v7
	v_cndmask_b32_e32 v7, v4, v8, vcc
	v_mov_b32_e32 v8, v3
.LBB0_6:                                ;   in Loop: Header=BB0_2 Depth=1
	s_or_b64 exec, exec, s[0:1]
	v_mul_lo_u32 v4, v8, s20
	v_mul_lo_u32 v11, v7, s21
	v_mad_u64_u32 v[9:10], s[0:1], v7, s20, 0
	s_load_dwordx2 s[0:1], s[6:7], 0x0
	s_add_u32 s18, s18, 1
	v_add3_u32 v4, v10, v11, v4
	v_sub_co_u32_e32 v5, vcc, v5, v9
	v_subb_co_u32_e32 v4, vcc, v6, v4, vcc
	s_waitcnt lgkmcnt(0)
	v_mul_lo_u32 v4, s0, v4
	v_mul_lo_u32 v6, s1, v5
	v_mad_u64_u32 v[1:2], s[0:1], s0, v5, v[1:2]
	s_addc_u32 s19, s19, 0
	s_add_u32 s6, s6, 8
	v_add3_u32 v2, v6, v2, v4
	v_mov_b32_e32 v4, s10
	v_mov_b32_e32 v5, s11
	s_addc_u32 s7, s7, 0
	v_cmp_ge_u64_e32 vcc, s[18:19], v[4:5]
	s_add_u32 s16, s16, 8
	s_addc_u32 s17, s17, 0
	s_cbranch_vccnz .LBB0_9
; %bb.7:                                ;   in Loop: Header=BB0_2 Depth=1
	v_mov_b32_e32 v5, v7
	v_mov_b32_e32 v6, v8
	s_branch .LBB0_2
.LBB0_8:
	v_mov_b32_e32 v8, v6
	v_mov_b32_e32 v7, v5
.LBB0_9:
	s_lshl_b64 s[0:1], s[10:11], 3
	s_add_u32 s0, s14, s0
	s_addc_u32 s1, s15, s1
	s_load_dwordx2 s[6:7], s[0:1], 0x0
	s_load_dwordx2 s[10:11], s[4:5], 0x20
                                        ; implicit-def: $vgpr6
	s_waitcnt lgkmcnt(0)
	v_mad_u64_u32 v[1:2], s[0:1], s6, v7, v[1:2]
	s_mov_b32 s0, 0x2222223
	v_mul_lo_u32 v3, s6, v8
	v_mul_lo_u32 v4, s7, v7
	v_mul_hi_u32 v5, v0, s0
	v_cmp_gt_u64_e32 vcc, s[10:11], v[7:8]
	v_cmp_le_u64_e64 s[0:1], s[10:11], v[7:8]
	v_add3_u32 v2, v4, v2, v3
	v_mul_u32_u24_e32 v3, 0x78, v5
	v_sub_u32_e32 v4, v0, v3
                                        ; implicit-def: $vgpr7
                                        ; implicit-def: $vgpr5
                                        ; implicit-def: $vgpr8
	s_and_saveexec_b64 s[4:5], s[0:1]
	s_xor_b64 s[0:1], exec, s[4:5]
; %bb.10:
	v_add_u32_e32 v6, 0x78, v4
	v_add_u32_e32 v7, 0xf0, v4
	;; [unrolled: 1-line block ×4, first 2 shown]
; %bb.11:
	s_or_saveexec_b64 s[4:5], s[0:1]
	v_lshlrev_b64 v[0:1], 2, v[1:2]
                                        ; implicit-def: $vgpr28
                                        ; implicit-def: $vgpr25
                                        ; implicit-def: $vgpr38
                                        ; implicit-def: $vgpr33
                                        ; implicit-def: $vgpr29
                                        ; implicit-def: $vgpr24
                                        ; implicit-def: $vgpr39
                                        ; implicit-def: $vgpr34
                                        ; implicit-def: $vgpr30
                                        ; implicit-def: $vgpr26
                                        ; implicit-def: $vgpr40
                                        ; implicit-def: $vgpr35
                                        ; implicit-def: $vgpr31
                                        ; implicit-def: $vgpr2
                                        ; implicit-def: $vgpr41
                                        ; implicit-def: $vgpr16
                                        ; implicit-def: $vgpr32
                                        ; implicit-def: $vgpr10
                                        ; implicit-def: $vgpr42
                                        ; implicit-def: $vgpr19
                                        ; implicit-def: $vgpr47
                                        ; implicit-def: $vgpr36
                                        ; implicit-def: $vgpr52
                                        ; implicit-def: $vgpr44
                                        ; implicit-def: $vgpr48
                                        ; implicit-def: $vgpr37
                                        ; implicit-def: $vgpr53
                                        ; implicit-def: $vgpr45
                                        ; implicit-def: $vgpr49
                                        ; implicit-def: $vgpr3
                                        ; implicit-def: $vgpr54
                                        ; implicit-def: $vgpr17
                                        ; implicit-def: $vgpr50
                                        ; implicit-def: $vgpr9
                                        ; implicit-def: $vgpr55
                                        ; implicit-def: $vgpr18
                                        ; implicit-def: $vgpr51
                                        ; implicit-def: $vgpr14
                                        ; implicit-def: $vgpr56
                                        ; implicit-def: $vgpr23
                                        ; implicit-def: $vgpr57
                                        ; implicit-def: $vgpr43
                                        ; implicit-def: $vgpr62
                                        ; implicit-def: $vgpr46
                                        ; implicit-def: $vgpr58
                                        ; implicit-def: $vgpr11
                                        ; implicit-def: $vgpr63
                                        ; implicit-def: $vgpr20
                                        ; implicit-def: $vgpr59
                                        ; implicit-def: $vgpr12
                                        ; implicit-def: $vgpr64
                                        ; implicit-def: $vgpr21
                                        ; implicit-def: $vgpr60
                                        ; implicit-def: $vgpr13
                                        ; implicit-def: $vgpr65
                                        ; implicit-def: $vgpr22
                                        ; implicit-def: $vgpr61
                                        ; implicit-def: $vgpr15
                                        ; implicit-def: $vgpr66
                                        ; implicit-def: $vgpr27
	s_xor_b64 exec, exec, s[4:5]
	s_cbranch_execz .LBB0_13
; %bb.12:
	v_mad_u64_u32 v[2:3], s[0:1], s2, v4, 0
	v_add_u32_e32 v5, 0x168, v4
	v_mov_b32_e32 v9, s13
	v_mad_u64_u32 v[6:7], s[0:1], s3, v4, v[3:4]
	v_mad_u64_u32 v[7:8], s[0:1], s2, v5, 0
	v_mov_b32_e32 v3, v6
	v_add_co_u32_e64 v24, s[0:1], s12, v0
	v_mov_b32_e32 v6, v8
	v_addc_co_u32_e64 v25, s[0:1], v9, v1, s[0:1]
	v_mad_u64_u32 v[8:9], s[0:1], s3, v5, v[6:7]
	v_add_u32_e32 v11, 0x2d0, v4
	v_mad_u64_u32 v[9:10], s[0:1], s2, v11, 0
	v_lshlrev_b64 v[2:3], 2, v[2:3]
	v_lshlrev_b64 v[6:7], 2, v[7:8]
	v_add_co_u32_e64 v2, s[0:1], v24, v2
	v_mov_b32_e32 v8, v10
	v_addc_co_u32_e64 v3, s[0:1], v25, v3, s[0:1]
	v_mad_u64_u32 v[10:11], s[0:1], s3, v11, v[8:9]
	v_add_u32_e32 v13, 0x438, v4
	v_mad_u64_u32 v[11:12], s[0:1], s2, v13, 0
	v_add_co_u32_e64 v6, s[0:1], v24, v6
	v_lshlrev_b64 v[8:9], 2, v[9:10]
	v_mov_b32_e32 v10, v12
	v_addc_co_u32_e64 v7, s[0:1], v25, v7, s[0:1]
	v_mad_u64_u32 v[12:13], s[0:1], s3, v13, v[10:11]
	v_add_u32_e32 v15, 0x5a0, v4
	v_mad_u64_u32 v[13:14], s[0:1], s2, v15, 0
	v_add_co_u32_e64 v8, s[0:1], v24, v8
	v_lshlrev_b64 v[10:11], 2, v[11:12]
	v_mov_b32_e32 v12, v14
	v_addc_co_u32_e64 v9, s[0:1], v25, v9, s[0:1]
	v_mad_u64_u32 v[14:15], s[0:1], s3, v15, v[12:13]
	v_add_u32_e32 v19, 0x708, v4
	v_mad_u64_u32 v[15:16], s[0:1], s2, v19, 0
	v_add_co_u32_e64 v17, s[0:1], v24, v10
	v_mov_b32_e32 v12, v16
	v_addc_co_u32_e64 v18, s[0:1], v25, v11, s[0:1]
	v_lshlrev_b64 v[10:11], 2, v[13:14]
	v_mad_u64_u32 v[12:13], s[0:1], s3, v19, v[12:13]
	v_add_u32_e32 v19, 0x870, v4
	v_mad_u64_u32 v[13:14], s[0:1], s2, v19, 0
	v_add_co_u32_e64 v28, s[0:1], v24, v10
	v_mov_b32_e32 v16, v12
	v_mov_b32_e32 v12, v14
	v_addc_co_u32_e64 v29, s[0:1], v25, v11, s[0:1]
	v_lshlrev_b64 v[10:11], 2, v[15:16]
	v_mad_u64_u32 v[14:15], s[0:1], s3, v19, v[12:13]
	v_add_u32_e32 v19, 0x9d8, v4
	v_mad_u64_u32 v[15:16], s[0:1], s2, v19, 0
	v_add_co_u32_e64 v30, s[0:1], v24, v10
	v_mov_b32_e32 v12, v16
	v_addc_co_u32_e64 v31, s[0:1], v25, v11, s[0:1]
	v_lshlrev_b64 v[10:11], 2, v[13:14]
	v_mad_u64_u32 v[12:13], s[0:1], s3, v19, v[12:13]
	v_add_co_u32_e64 v32, s[0:1], v24, v10
	v_mov_b32_e32 v16, v12
	v_add_u32_e32 v12, 0xb40, v4
	v_addc_co_u32_e64 v33, s[0:1], v25, v11, s[0:1]
	v_lshlrev_b64 v[10:11], 2, v[15:16]
	v_mad_u64_u32 v[34:35], s[0:1], s2, v12, 0
	v_add_co_u32_e64 v36, s[0:1], v24, v10
	v_add_u32_e32 v14, 0xca8, v4
	v_addc_co_u32_e64 v37, s[0:1], v25, v11, s[0:1]
	v_mad_u64_u32 v[38:39], s[0:1], s2, v14, 0
	v_mov_b32_e32 v10, v35
	v_mad_u64_u32 v[10:11], s[0:1], s3, v12, v[10:11]
	global_load_dword v27, v[2:3], off
	global_load_dword v15, v[6:7], off
	;; [unrolled: 1-line block ×8, first 2 shown]
	v_mov_b32_e32 v6, v39
	v_mad_u64_u32 v[7:8], s[0:1], s3, v14, v[6:7]
	v_add_u32_e32 v6, 0x78, v4
	v_mov_b32_e32 v35, v10
	v_mad_u64_u32 v[9:10], s[0:1], s2, v6, 0
	v_lshlrev_b64 v[2:3], 2, v[34:35]
	v_mov_b32_e32 v39, v7
	v_add_co_u32_e64 v28, s[0:1], v24, v2
	v_mov_b32_e32 v7, v10
	v_addc_co_u32_e64 v29, s[0:1], v25, v3, s[0:1]
	v_mad_u64_u32 v[7:8], s[0:1], s3, v6, v[7:8]
	v_add_u32_e32 v8, 0x1e0, v4
	v_mad_u64_u32 v[16:17], s[0:1], s2, v8, 0
	v_lshlrev_b64 v[2:3], 2, v[38:39]
	v_mov_b32_e32 v10, v7
	v_add_co_u32_e64 v30, s[0:1], v24, v2
	v_mov_b32_e32 v7, v17
	v_addc_co_u32_e64 v31, s[0:1], v25, v3, s[0:1]
	v_lshlrev_b64 v[2:3], 2, v[9:10]
	v_mad_u64_u32 v[9:10], s[0:1], s3, v8, v[7:8]
	v_add_u32_e32 v10, 0x348, v4
	v_mad_u64_u32 v[18:19], s[0:1], s2, v10, 0
	v_add_co_u32_e64 v32, s[0:1], v24, v2
	v_mov_b32_e32 v7, v19
	v_addc_co_u32_e64 v33, s[0:1], v25, v3, s[0:1]
	v_mov_b32_e32 v17, v9
	v_mad_u64_u32 v[9:10], s[0:1], s3, v10, v[7:8]
	v_add_u32_e32 v10, 0x4b0, v4
	v_lshlrev_b64 v[2:3], 2, v[16:17]
	v_mad_u64_u32 v[16:17], s[0:1], s2, v10, 0
	v_add_co_u32_e64 v34, s[0:1], v24, v2
	v_mov_b32_e32 v7, v17
	v_addc_co_u32_e64 v35, s[0:1], v25, v3, s[0:1]
	v_mov_b32_e32 v19, v9
	v_mad_u64_u32 v[9:10], s[0:1], s3, v10, v[7:8]
	v_add_u32_e32 v10, 0x618, v4
	v_lshlrev_b64 v[2:3], 2, v[18:19]
	v_mad_u64_u32 v[18:19], s[0:1], s2, v10, 0
	v_add_co_u32_e64 v36, s[0:1], v24, v2
	v_mov_b32_e32 v7, v19
	v_addc_co_u32_e64 v37, s[0:1], v25, v3, s[0:1]
	v_mov_b32_e32 v17, v9
	v_mad_u64_u32 v[9:10], s[0:1], s3, v10, v[7:8]
	v_or_b32_e32 v10, 0x780, v4
	v_lshlrev_b64 v[2:3], 2, v[16:17]
	v_mad_u64_u32 v[16:17], s[0:1], s2, v10, 0
	v_add_co_u32_e64 v38, s[0:1], v24, v2
	v_mov_b32_e32 v19, v9
	v_mov_b32_e32 v7, v17
	v_addc_co_u32_e64 v39, s[0:1], v25, v3, s[0:1]
	v_lshlrev_b64 v[2:3], 2, v[18:19]
	v_mad_u64_u32 v[9:10], s[0:1], s3, v10, v[7:8]
	v_add_co_u32_e64 v40, s[0:1], v24, v2
	v_add_u32_e32 v7, 0x8e8, v4
	v_addc_co_u32_e64 v41, s[0:1], v25, v3, s[0:1]
	v_mad_u64_u32 v[44:45], s[0:1], s2, v7, 0
	v_mov_b32_e32 v17, v9
	v_lshlrev_b64 v[2:3], 2, v[16:17]
	v_add_u32_e32 v10, 0x258, v4
	v_add_co_u32_e64 v47, s[0:1], v24, v2
	v_mov_b32_e32 v2, v45
	v_addc_co_u32_e64 v48, s[0:1], v25, v3, s[0:1]
	v_mad_u64_u32 v[2:3], s[0:1], s3, v7, v[2:3]
	global_load_dword v46, v[28:29], off
	global_load_dword v43, v[30:31], off
	global_load_dword v23, v[32:33], off
	global_load_dword v14, v[34:35], off
	global_load_dword v18, v[36:37], off
	global_load_dword v9, v[38:39], off
	global_load_dword v17, v[40:41], off
	global_load_dword v3, v[47:48], off
	v_add_u32_e32 v7, 0xa50, v4
	v_mad_u64_u32 v[49:50], s[0:1], s2, v7, 0
	v_mov_b32_e32 v45, v2
	v_lshlrev_b64 v[28:29], 2, v[44:45]
	v_mov_b32_e32 v2, v50
	s_waitcnt vmcnt(15)
	v_lshrrev_b32_e32 v66, 16, v27
	s_waitcnt vmcnt(14)
	v_lshrrev_b32_e32 v61, 16, v15
	;; [unrolled: 2-line block ×10, first 2 shown]
	s_waitcnt vmcnt(0)
	v_mad_u64_u32 v[30:31], s[0:1], s3, v7, v[2:3]
	v_add_u32_e32 v7, 0xbb8, v4
	v_mad_u64_u32 v[31:32], s[0:1], s2, v7, 0
	v_add_co_u32_e64 v28, s[0:1], v24, v28
	v_mov_b32_e32 v2, v32
	v_addc_co_u32_e64 v29, s[0:1], v25, v29, s[0:1]
	v_mad_u64_u32 v[35:36], s[0:1], s3, v7, v[2:3]
	v_add_u32_e32 v7, 0xd20, v4
	v_mad_u64_u32 v[36:37], s[0:1], s2, v7, 0
	v_mov_b32_e32 v50, v30
	v_lshlrev_b64 v[33:34], 2, v[49:50]
	v_mov_b32_e32 v2, v37
	v_add_co_u32_e64 v33, s[0:1], v24, v33
	v_addc_co_u32_e64 v34, s[0:1], v25, v34, s[0:1]
	v_mad_u64_u32 v[37:38], s[0:1], s3, v7, v[2:3]
	v_add_u32_e32 v7, 0xf0, v4
	v_mad_u64_u32 v[38:39], s[0:1], s2, v7, 0
	v_mov_b32_e32 v32, v35
	v_lshlrev_b64 v[30:31], 2, v[31:32]
	v_mov_b32_e32 v2, v39
	v_add_co_u32_e64 v30, s[0:1], v24, v30
	v_addc_co_u32_e64 v31, s[0:1], v25, v31, s[0:1]
	v_mad_u64_u32 v[39:40], s[0:1], s3, v7, v[2:3]
	v_mad_u64_u32 v[40:41], s[0:1], s2, v10, 0
	v_lshlrev_b64 v[35:36], 2, v[36:37]
	v_add_u32_e32 v32, 0x7f8, v4
	v_add_co_u32_e64 v47, s[0:1], v24, v35
	v_mov_b32_e32 v2, v41
	v_addc_co_u32_e64 v48, s[0:1], v25, v36, s[0:1]
	v_lshlrev_b64 v[35:36], 2, v[38:39]
	v_mad_u64_u32 v[37:38], s[0:1], s3, v10, v[2:3]
	v_add_u32_e32 v10, 0x3c0, v4
	v_mad_u64_u32 v[38:39], s[0:1], s2, v10, 0
	v_add_co_u32_e64 v49, s[0:1], v24, v35
	v_mov_b32_e32 v41, v37
	v_mov_b32_e32 v2, v39
	v_addc_co_u32_e64 v50, s[0:1], v25, v36, s[0:1]
	v_lshlrev_b64 v[35:36], 2, v[40:41]
	v_mad_u64_u32 v[39:40], s[0:1], s3, v10, v[2:3]
	v_add_u32_e32 v10, 0x528, v4
	v_mad_u64_u32 v[40:41], s[0:1], s2, v10, 0
	v_add_co_u32_e64 v51, s[0:1], v24, v35
	v_mov_b32_e32 v2, v41
	v_addc_co_u32_e64 v52, s[0:1], v25, v36, s[0:1]
	v_lshlrev_b64 v[35:36], 2, v[38:39]
	v_mad_u64_u32 v[37:38], s[0:1], s3, v10, v[2:3]
	v_add_co_u32_e64 v38, s[0:1], v24, v35
	v_mov_b32_e32 v41, v37
	v_add_u32_e32 v10, 0x690, v4
	v_addc_co_u32_e64 v39, s[0:1], v25, v36, s[0:1]
	v_lshlrev_b64 v[35:36], 2, v[40:41]
	v_mad_u64_u32 v[40:41], s[0:1], s2, v10, 0
	v_add_co_u32_e64 v53, s[0:1], v24, v35
	v_addc_co_u32_e64 v54, s[0:1], v25, v36, s[0:1]
	v_mov_b32_e32 v2, v41
	v_mad_u64_u32 v[55:56], s[0:1], s2, v32, 0
	v_mad_u64_u32 v[35:36], s[0:1], s3, v10, v[2:3]
	v_mov_b32_e32 v26, v56
	global_load_dword v45, v[28:29], off
	global_load_dword v37, v[33:34], off
	;; [unrolled: 1-line block ×8, first 2 shown]
	v_mov_b32_e32 v41, v35
	v_mad_u64_u32 v[30:31], s[0:1], s3, v32, v[26:27]
	v_add_u32_e32 v35, 0x960, v4
	v_mad_u64_u32 v[31:32], s[0:1], s2, v35, 0
	v_lshlrev_b64 v[28:29], 2, v[40:41]
	v_mov_b32_e32 v56, v30
	v_add_co_u32_e64 v28, s[0:1], v24, v28
	v_mov_b32_e32 v26, v32
	v_addc_co_u32_e64 v29, s[0:1], v25, v29, s[0:1]
	v_mad_u64_u32 v[38:39], s[0:1], s3, v35, v[26:27]
	v_add_u32_e32 v35, 0xac8, v4
	v_mad_u64_u32 v[39:40], s[0:1], s2, v35, 0
	v_lshlrev_b64 v[33:34], 2, v[55:56]
	v_mov_b32_e32 v32, v38
	v_add_co_u32_e64 v41, s[0:1], v24, v33
	v_mov_b32_e32 v26, v40
	v_addc_co_u32_e64 v42, s[0:1], v25, v34, s[0:1]
	v_lshlrev_b64 v[30:31], 2, v[31:32]
	v_mad_u64_u32 v[32:33], s[0:1], s3, v35, v[26:27]
	v_add_u32_e32 v35, 0xc30, v4
	v_mad_u64_u32 v[33:34], s[0:1], s2, v35, 0
	v_add_co_u32_e64 v30, s[0:1], v24, v30
	v_mov_b32_e32 v26, v34
	v_addc_co_u32_e64 v31, s[0:1], v25, v31, s[0:1]
	v_mad_u64_u32 v[34:35], s[0:1], s3, v35, v[26:27]
	v_add_u32_e32 v35, 0xd98, v4
	v_mad_u64_u32 v[47:48], s[0:1], s2, v35, 0
	v_mov_b32_e32 v40, v32
	v_lshlrev_b64 v[38:39], 2, v[39:40]
	v_mov_b32_e32 v26, v48
	v_add_co_u32_e64 v38, s[0:1], v24, v38
	v_addc_co_u32_e64 v39, s[0:1], v25, v39, s[0:1]
	v_lshlrev_b64 v[32:33], 2, v[33:34]
	v_mad_u64_u32 v[34:35], s[0:1], s3, v35, v[26:27]
	v_add_co_u32_e64 v49, s[0:1], v24, v32
	v_mov_b32_e32 v48, v34
	v_addc_co_u32_e64 v50, s[0:1], v25, v33, s[0:1]
	v_lshlrev_b64 v[32:33], 2, v[47:48]
	v_lshrrev_b32_e32 v56, 16, v23
	v_add_co_u32_e64 v47, s[0:1], v24, v32
	v_addc_co_u32_e64 v48, s[0:1], v25, v33, s[0:1]
	global_load_dword v35, v[28:29], off
	global_load_dword v26, v[41:42], off
	;; [unrolled: 1-line block ×6, first 2 shown]
	v_lshrrev_b32_e32 v51, 16, v14
	v_lshrrev_b32_e32 v55, 16, v18
	;; [unrolled: 1-line block ×5, first 2 shown]
	s_waitcnt vmcnt(13)
	v_lshrrev_b32_e32 v53, 16, v45
	s_waitcnt vmcnt(12)
	v_lshrrev_b32_e32 v48, 16, v37
	;; [unrolled: 2-line block ×14, first 2 shown]
.LBB0_13:
	s_or_b64 exec, exec, s[4:5]
	v_add_f16_e32 v68, v20, v21
	v_fma_f16 v68, v68, -0.5, v27
	v_sub_f16_e32 v69, v65, v62
	s_mov_b32 s6, 0xbb9c
	s_movk_i32 s1, 0x3b9c
	v_fma_f16 v70, v69, s6, v68
	v_sub_f16_e32 v71, v64, v63
	s_mov_b32 s5, 0xb8b4
	v_sub_f16_e32 v72, v22, v21
	v_sub_f16_e32 v73, v46, v20
	v_fma_f16 v68, v69, s1, v68
	s_movk_i32 s0, 0x38b4
	v_fma_f16 v70, v71, s5, v70
	v_add_f16_e32 v72, v73, v72
	s_movk_i32 s4, 0x34f2
	v_fma_f16 v68, v71, s0, v68
	v_fma_f16 v70, v72, s4, v70
	;; [unrolled: 1-line block ×3, first 2 shown]
	v_add_f16_e32 v72, v46, v22
	v_add_f16_e32 v67, v22, v27
	v_fma_f16 v27, v72, -0.5, v27
	v_add_f16_e32 v67, v21, v67
	v_fma_f16 v72, v71, s1, v27
	v_fma_f16 v27, v71, s6, v27
	v_add_f16_e32 v71, v63, v64
	v_add_f16_e32 v67, v20, v67
	v_sub_f16_e32 v73, v21, v22
	v_sub_f16_e32 v74, v20, v46
	v_fma_f16 v71, v71, -0.5, v66
	v_sub_f16_e32 v22, v22, v46
	v_add_f16_e32 v67, v46, v67
	v_fma_f16 v72, v69, s5, v72
	v_add_f16_e32 v73, v74, v73
	v_fma_f16 v27, v69, s0, v27
	v_fma_f16 v46, v22, s1, v71
	v_sub_f16_e32 v20, v21, v20
	v_fma_f16 v72, v73, s4, v72
	v_fma_f16 v27, v73, s4, v27
	;; [unrolled: 1-line block ×3, first 2 shown]
	v_sub_f16_e32 v46, v65, v64
	v_sub_f16_e32 v73, v62, v63
	v_fma_f16 v71, v22, s6, v71
	v_add_f16_e32 v69, v65, v66
	v_add_f16_e32 v46, v73, v46
	v_fma_f16 v71, v20, s5, v71
	v_add_f16_e32 v69, v64, v69
	v_fma_f16 v21, v46, s4, v21
	v_fma_f16 v46, v46, s4, v71
	v_add_f16_e32 v71, v62, v65
	v_add_f16_e32 v69, v63, v69
	v_fma_f16 v66, v71, -0.5, v66
	v_add_f16_e32 v69, v62, v69
	v_fma_f16 v71, v20, s6, v66
	v_sub_f16_e32 v64, v64, v65
	v_sub_f16_e32 v62, v63, v62
	v_fma_f16 v20, v20, s1, v66
	v_fma_f16 v71, v22, s0, v71
	v_add_f16_e32 v62, v62, v64
	v_fma_f16 v20, v22, s5, v20
	v_fma_f16 v63, v62, s4, v71
	;; [unrolled: 1-line block ×3, first 2 shown]
	v_add_f16_e32 v62, v11, v12
	v_fma_f16 v62, v62, -0.5, v15
	v_sub_f16_e32 v64, v60, v57
	v_fma_f16 v65, v64, s6, v62
	v_sub_f16_e32 v66, v59, v58
	v_sub_f16_e32 v71, v13, v12
	;; [unrolled: 1-line block ×3, first 2 shown]
	v_fma_f16 v62, v64, s1, v62
	v_fma_f16 v65, v66, s5, v65
	v_add_f16_e32 v71, v73, v71
	v_fma_f16 v62, v66, s0, v62
	v_fma_f16 v65, v71, s4, v65
	;; [unrolled: 1-line block ×3, first 2 shown]
	v_add_f16_e32 v71, v43, v13
	v_add_f16_e32 v22, v13, v15
	v_fma_f16 v15, v71, -0.5, v15
	v_add_f16_e32 v22, v12, v22
	v_fma_f16 v71, v66, s1, v15
	v_fma_f16 v15, v66, s6, v15
	v_add_f16_e32 v66, v58, v59
	v_add_f16_e32 v22, v11, v22
	v_sub_f16_e32 v73, v12, v13
	v_sub_f16_e32 v74, v11, v43
	v_fma_f16 v66, v66, -0.5, v61
	v_sub_f16_e32 v13, v13, v43
	v_add_f16_e32 v22, v43, v22
	v_fma_f16 v71, v64, s5, v71
	v_add_f16_e32 v73, v74, v73
	v_fma_f16 v15, v64, s0, v15
	v_fma_f16 v43, v13, s1, v66
	v_sub_f16_e32 v11, v12, v11
	v_fma_f16 v71, v73, s4, v71
	v_fma_f16 v15, v73, s4, v15
	;; [unrolled: 1-line block ×3, first 2 shown]
	v_sub_f16_e32 v43, v60, v59
	v_sub_f16_e32 v73, v57, v58
	v_fma_f16 v66, v13, s6, v66
	v_add_f16_e32 v64, v60, v61
	v_add_f16_e32 v43, v73, v43
	v_fma_f16 v66, v11, s5, v66
	v_add_f16_e32 v64, v59, v64
	v_fma_f16 v12, v43, s4, v12
	v_fma_f16 v43, v43, s4, v66
	v_add_f16_e32 v66, v57, v60
	v_add_f16_e32 v64, v58, v64
	v_fma_f16 v61, v66, -0.5, v61
	v_add_f16_e32 v64, v57, v64
	v_fma_f16 v66, v11, s6, v61
	v_sub_f16_e32 v59, v59, v60
	v_sub_f16_e32 v57, v58, v57
	v_fma_f16 v11, v11, s1, v61
	v_fma_f16 v66, v13, s0, v66
	v_add_f16_e32 v57, v57, v59
	v_fma_f16 v11, v13, s5, v11
	v_fma_f16 v58, v57, s4, v66
	;; [unrolled: 1-line block ×3, first 2 shown]
	v_mul_f16_e32 v57, 0xb8b4, v12
	s_movk_i32 s11, 0x3a79
	v_fma_f16 v57, v65, s11, v57
	v_mul_f16_e32 v66, 0xbb9c, v11
	s_mov_b32 s10, 0xb4f2
	v_mul_f16_e32 v65, 0x38b4, v65
	v_mul_f16_e32 v11, 0xb4f2, v11
	;; [unrolled: 1-line block ×3, first 2 shown]
	v_fma_f16 v66, v15, s10, v66
	v_fma_f16 v12, v12, s11, v65
	;; [unrolled: 1-line block ×3, first 2 shown]
	v_mul_f16_e32 v15, 0xba79, v43
	v_fma_f16 v60, v71, s4, v60
	v_add_f16_e32 v73, v27, v66
	v_mul_f16_e32 v74, 0xb8b4, v43
	s_mov_b32 s7, 0xba79
	v_add_f16_e32 v65, v21, v12
	v_mul_f16_e32 v71, 0x3b9c, v71
	v_fma_f16 v15, v62, s0, v15
	v_sub_f16_e32 v27, v27, v66
	v_sub_f16_e32 v66, v21, v12
	v_add_f16_e32 v12, v45, v17
	v_fma_f16 v74, v62, s7, v74
	v_fma_f16 v58, v58, s4, v71
	v_add_f16_e32 v43, v46, v15
	v_sub_f16_e32 v46, v46, v15
	v_fma_f16 v12, v12, -0.5, v23
	v_sub_f16_e32 v15, v55, v52
	v_add_f16_e32 v13, v22, v67
	v_add_f16_e32 v75, v68, v74
	;; [unrolled: 1-line block ×3, first 2 shown]
	v_sub_f16_e32 v22, v67, v22
	v_sub_f16_e32 v62, v68, v74
	;; [unrolled: 1-line block ×3, first 2 shown]
	v_fma_f16 v21, v15, s6, v12
	v_sub_f16_e32 v63, v54, v53
	v_sub_f16_e32 v67, v18, v17
	;; [unrolled: 1-line block ×3, first 2 shown]
	v_fma_f16 v12, v15, s1, v12
	v_fma_f16 v21, v63, s5, v21
	v_add_f16_e32 v67, v68, v67
	v_fma_f16 v12, v63, s0, v12
	v_fma_f16 v21, v67, s4, v21
	;; [unrolled: 1-line block ×3, first 2 shown]
	v_add_f16_e32 v67, v44, v18
	v_add_f16_e32 v77, v20, v11
	v_sub_f16_e32 v20, v20, v11
	v_add_f16_e32 v11, v18, v23
	v_fma_f16 v23, v67, -0.5, v23
	v_add_f16_e32 v76, v64, v69
	v_sub_f16_e32 v64, v69, v64
	v_add_f16_e32 v11, v17, v11
	v_fma_f16 v67, v63, s1, v23
	v_sub_f16_e32 v68, v17, v18
	v_sub_f16_e32 v69, v45, v44
	v_fma_f16 v23, v63, s6, v23
	v_add_f16_e32 v63, v53, v54
	v_add_f16_e32 v11, v45, v11
	v_fma_f16 v67, v15, s5, v67
	v_add_f16_e32 v68, v69, v68
	v_fma_f16 v15, v15, s0, v23
	v_fma_f16 v63, v63, -0.5, v56
	v_sub_f16_e32 v18, v18, v44
	v_add_f16_e32 v11, v44, v11
	v_fma_f16 v67, v68, s4, v67
	v_fma_f16 v15, v68, s4, v15
	;; [unrolled: 1-line block ×3, first 2 shown]
	v_sub_f16_e32 v17, v17, v45
	v_sub_f16_e32 v45, v55, v54
	;; [unrolled: 1-line block ×3, first 2 shown]
	v_fma_f16 v63, v18, s6, v63
	v_add_f16_e32 v23, v55, v56
	v_fma_f16 v44, v17, s0, v44
	v_add_f16_e32 v45, v68, v45
	;; [unrolled: 2-line block ×3, first 2 shown]
	v_fma_f16 v44, v45, s4, v44
	v_fma_f16 v45, v45, s4, v63
	v_add_f16_e32 v63, v52, v55
	v_add_f16_e32 v23, v53, v23
	v_fma_f16 v56, v63, -0.5, v56
	v_add_f16_e32 v23, v52, v23
	v_fma_f16 v63, v17, s6, v56
	v_sub_f16_e32 v54, v54, v55
	v_sub_f16_e32 v52, v53, v52
	v_fma_f16 v17, v17, s1, v56
	v_fma_f16 v63, v18, s0, v63
	v_add_f16_e32 v52, v52, v54
	v_fma_f16 v17, v18, s5, v17
	v_fma_f16 v53, v52, s4, v63
	;; [unrolled: 1-line block ×3, first 2 shown]
	v_add_f16_e32 v52, v37, v3
	v_fma_f16 v52, v52, -0.5, v14
	v_sub_f16_e32 v54, v50, v47
	v_fma_f16 v55, v54, s6, v52
	v_sub_f16_e32 v56, v49, v48
	v_sub_f16_e32 v63, v9, v3
	;; [unrolled: 1-line block ×3, first 2 shown]
	v_fma_f16 v52, v54, s1, v52
	v_fma_f16 v55, v56, s5, v55
	v_add_f16_e32 v63, v68, v63
	v_fma_f16 v52, v56, s0, v52
	v_fma_f16 v55, v63, s4, v55
	;; [unrolled: 1-line block ×3, first 2 shown]
	v_add_f16_e32 v63, v36, v9
	v_add_f16_e32 v18, v9, v14
	v_fma_f16 v14, v63, -0.5, v14
	v_add_f16_e32 v18, v3, v18
	v_fma_f16 v63, v56, s1, v14
	v_sub_f16_e32 v68, v3, v9
	v_sub_f16_e32 v69, v37, v36
	v_fma_f16 v14, v56, s6, v14
	v_add_f16_e32 v56, v48, v49
	v_add_f16_e32 v18, v37, v18
	v_fma_f16 v63, v54, s5, v63
	v_add_f16_e32 v68, v69, v68
	v_fma_f16 v14, v54, s0, v14
	v_fma_f16 v56, v56, -0.5, v51
	v_sub_f16_e32 v9, v9, v36
	v_add_f16_e32 v18, v36, v18
	v_fma_f16 v63, v68, s4, v63
	v_fma_f16 v14, v68, s4, v14
	;; [unrolled: 1-line block ×3, first 2 shown]
	v_sub_f16_e32 v3, v3, v37
	v_sub_f16_e32 v37, v50, v49
	;; [unrolled: 1-line block ×3, first 2 shown]
	v_fma_f16 v56, v9, s6, v56
	v_add_f16_e32 v54, v50, v51
	v_fma_f16 v36, v3, s0, v36
	v_add_f16_e32 v37, v68, v37
	;; [unrolled: 2-line block ×3, first 2 shown]
	v_fma_f16 v36, v37, s4, v36
	v_fma_f16 v37, v37, s4, v56
	v_add_f16_e32 v56, v47, v50
	v_add_f16_e32 v54, v48, v54
	v_fma_f16 v51, v56, -0.5, v51
	v_add_f16_e32 v54, v47, v54
	v_fma_f16 v56, v3, s6, v51
	v_sub_f16_e32 v49, v49, v50
	v_sub_f16_e32 v47, v48, v47
	v_fma_f16 v3, v3, s1, v51
	v_add_f16_e32 v47, v47, v49
	v_fma_f16 v3, v9, s5, v3
	v_fma_f16 v56, v9, s0, v56
	;; [unrolled: 1-line block ×4, first 2 shown]
	v_mul_f16_e32 v56, 0xbb9c, v3
	v_mul_f16_e32 v3, 0xb4f2, v3
	v_fma_f16 v56, v14, s10, v56
	v_fma_f16 v3, v14, s1, v3
	v_mul_f16_e32 v14, 0xba79, v37
	v_mul_f16_e32 v9, 0xb8b4, v36
	;; [unrolled: 1-line block ×4, first 2 shown]
	v_fma_f16 v14, v52, s0, v14
	v_fma_f16 v9, v55, s11, v9
	;; [unrolled: 1-line block ×4, first 2 shown]
	v_mul_f16_e32 v55, 0x38b4, v55
	v_mul_f16_e32 v63, 0x3b9c, v63
	v_add_f16_e32 v74, v17, v3
	v_add_f16_e32 v52, v45, v14
	v_sub_f16_e32 v3, v17, v3
	v_sub_f16_e32 v17, v45, v14
	v_add_f16_e32 v14, v34, v35
	v_add_f16_e32 v61, v72, v60
	v_sub_f16_e32 v60, v72, v60
	v_add_f16_e32 v47, v18, v11
	v_add_f16_e32 v49, v21, v9
	;; [unrolled: 1-line block ×4, first 2 shown]
	v_fma_f16 v36, v36, s11, v55
	v_fma_f16 v48, v48, s4, v63
	v_sub_f16_e32 v11, v11, v18
	v_sub_f16_e32 v18, v21, v9
	;; [unrolled: 1-line block ×4, first 2 shown]
	v_fma_f16 v14, v14, -0.5, v19
	v_sub_f16_e32 v23, v41, v38
	v_add_f16_e32 v55, v44, v36
	v_add_f16_e32 v63, v53, v48
	v_sub_f16_e32 v44, v44, v36
	v_sub_f16_e32 v48, v53, v48
	v_fma_f16 v36, v23, s6, v14
	v_sub_f16_e32 v37, v40, v39
	v_sub_f16_e32 v45, v16, v35
	;; [unrolled: 1-line block ×3, first 2 shown]
	v_fma_f16 v14, v23, s1, v14
	v_fma_f16 v36, v37, s5, v36
	v_add_f16_e32 v45, v53, v45
	v_fma_f16 v14, v37, s0, v14
	v_fma_f16 v36, v45, s4, v36
	;; [unrolled: 1-line block ×3, first 2 shown]
	v_add_f16_e32 v45, v33, v16
	v_add_f16_e32 v9, v16, v19
	v_fma_f16 v19, v45, -0.5, v19
	v_add_f16_e32 v9, v35, v9
	v_fma_f16 v45, v37, s1, v19
	v_sub_f16_e32 v53, v35, v16
	v_sub_f16_e32 v54, v34, v33
	v_fma_f16 v19, v37, s6, v19
	v_add_f16_e32 v37, v39, v40
	v_add_f16_e32 v9, v34, v9
	v_fma_f16 v45, v23, s5, v45
	v_add_f16_e32 v53, v54, v53
	v_fma_f16 v19, v23, s0, v19
	v_fma_f16 v37, v37, -0.5, v42
	v_sub_f16_e32 v16, v16, v33
	v_add_f16_e32 v9, v33, v9
	v_fma_f16 v45, v53, s4, v45
	v_fma_f16 v19, v53, s4, v19
	;; [unrolled: 1-line block ×3, first 2 shown]
	v_sub_f16_e32 v34, v35, v34
	v_sub_f16_e32 v35, v41, v40
	;; [unrolled: 1-line block ×3, first 2 shown]
	v_fma_f16 v37, v16, s6, v37
	v_add_f16_e32 v23, v41, v42
	v_fma_f16 v33, v34, s0, v33
	v_add_f16_e32 v35, v53, v35
	;; [unrolled: 2-line block ×3, first 2 shown]
	v_fma_f16 v33, v35, s4, v33
	v_fma_f16 v35, v35, s4, v37
	v_add_f16_e32 v37, v38, v41
	v_add_f16_e32 v23, v39, v23
	v_fma_f16 v37, v37, -0.5, v42
	v_add_f16_e32 v23, v38, v23
	v_fma_f16 v42, v34, s6, v37
	v_sub_f16_e32 v40, v40, v41
	v_sub_f16_e32 v38, v39, v38
	v_fma_f16 v34, v34, s1, v37
	v_fma_f16 v42, v16, s0, v42
	v_add_f16_e32 v38, v38, v40
	v_fma_f16 v16, v16, s5, v34
	v_add_f16_e32 v37, v24, v26
	v_fma_f16 v39, v38, s4, v42
	v_fma_f16 v16, v38, s4, v16
	v_fma_f16 v37, v37, -0.5, v10
	v_sub_f16_e32 v38, v31, v28
	v_fma_f16 v40, v38, s6, v37
	v_sub_f16_e32 v41, v30, v29
	v_sub_f16_e32 v42, v2, v26
	;; [unrolled: 1-line block ×3, first 2 shown]
	v_fma_f16 v37, v38, s1, v37
	v_fma_f16 v40, v41, s5, v40
	v_add_f16_e32 v42, v53, v42
	v_fma_f16 v37, v41, s0, v37
	v_fma_f16 v40, v42, s4, v40
	;; [unrolled: 1-line block ×3, first 2 shown]
	v_add_f16_e32 v42, v25, v2
	v_add_f16_e32 v34, v2, v10
	v_fma_f16 v10, v42, -0.5, v10
	v_add_f16_e32 v34, v26, v34
	v_fma_f16 v42, v41, s1, v10
	v_sub_f16_e32 v53, v26, v2
	v_sub_f16_e32 v54, v24, v25
	v_fma_f16 v10, v41, s6, v10
	v_add_f16_e32 v41, v29, v30
	v_add_f16_e32 v34, v24, v34
	v_fma_f16 v42, v38, s5, v42
	v_add_f16_e32 v53, v54, v53
	v_fma_f16 v10, v38, s0, v10
	v_fma_f16 v41, v41, -0.5, v32
	v_sub_f16_e32 v2, v2, v25
	v_add_f16_e32 v34, v25, v34
	v_fma_f16 v42, v53, s4, v42
	v_fma_f16 v10, v53, s4, v10
	v_fma_f16 v25, v2, s1, v41
	v_sub_f16_e32 v24, v26, v24
	v_sub_f16_e32 v26, v31, v30
	;; [unrolled: 1-line block ×3, first 2 shown]
	v_fma_f16 v41, v2, s6, v41
	v_add_f16_e32 v38, v31, v32
	v_fma_f16 v25, v24, s0, v25
	v_add_f16_e32 v26, v53, v26
	;; [unrolled: 2-line block ×3, first 2 shown]
	v_fma_f16 v25, v26, s4, v25
	v_fma_f16 v26, v26, s4, v41
	v_add_f16_e32 v41, v28, v31
	v_add_f16_e32 v38, v29, v38
	v_fma_f16 v32, v41, -0.5, v32
	v_add_f16_e32 v38, v28, v38
	v_fma_f16 v41, v24, s6, v32
	v_sub_f16_e32 v30, v30, v31
	v_sub_f16_e32 v28, v29, v28
	v_fma_f16 v24, v24, s1, v32
	v_fma_f16 v41, v2, s0, v41
	v_add_f16_e32 v28, v28, v30
	v_fma_f16 v2, v2, s5, v24
	v_fma_f16 v2, v28, s4, v2
	;; [unrolled: 1-line block ×3, first 2 shown]
	v_mul_f16_e32 v41, 0xbb9c, v2
	v_mul_f16_e32 v2, 0xb4f2, v2
	v_fma_f16 v41, v10, s10, v41
	v_fma_f16 v2, v10, s1, v2
	v_mul_f16_e32 v10, 0xba79, v26
	v_add_f16_e32 v59, v70, v57
	v_add_f16_e32 v24, v34, v9
	v_mul_f16_e32 v54, 0xb8b4, v26
	v_fma_f16 v10, v37, s0, v10
	v_sub_f16_e32 v26, v9, v34
	v_mul_u32_u24_e32 v9, 10, v4
	v_sub_f16_e32 v57, v70, v57
	v_add_f16_e32 v79, v16, v2
	v_add_f16_e32 v80, v35, v10
	v_sub_f16_e32 v2, v16, v2
	v_sub_f16_e32 v16, v35, v10
	v_lshl_add_u32 v82, v9, 1, 0
	v_pack_b32_f16 v9, v61, v73
	v_pack_b32_f16 v10, v13, v59
	ds_write2_b32 v82, v10, v9 offset1:1
	v_pack_b32_f16 v9, v57, v60
	v_pack_b32_f16 v10, v75, v22
	ds_write2_b32 v82, v10, v9 offset0:2 offset1:3
	v_pack_b32_f16 v9, v27, v62
	v_add_f16_e32 v68, v15, v56
	ds_write_b32 v82, v9 offset:16
	v_mul_i32_i24_e32 v9, 10, v6
	v_add_f16_e32 v70, v12, v69
	v_lshl_add_u32 v9, v9, 1, 0
	v_pack_b32_f16 v10, v51, v68
	v_pack_b32_f16 v13, v47, v49
	v_sub_f16_e32 v15, v15, v56
	v_sub_f16_e32 v12, v12, v69
	v_mul_f16_e32 v28, 0xb8b4, v25
	v_mul_f16_e32 v31, 0xbb9c, v29
	ds_write2_b32 v9, v13, v10 offset1:1
	v_pack_b32_f16 v10, v18, v21
	v_pack_b32_f16 v11, v70, v11
	v_fma_f16 v28, v40, s11, v28
	v_fma_f16 v31, v42, s4, v31
	ds_write2_b32 v9, v11, v10 offset0:2 offset1:3
	v_pack_b32_f16 v10, v15, v12
	v_add_f16_e32 v30, v36, v28
	v_add_f16_e32 v32, v45, v31
	;; [unrolled: 1-line block ×3, first 2 shown]
	v_fma_f16 v54, v37, s7, v54
	ds_write_b32 v9, v10 offset:16
	v_mul_i32_i24_e32 v10, 10, v7
	v_add_f16_e32 v56, v14, v54
	v_sub_f16_e32 v28, v36, v28
	v_sub_f16_e32 v31, v45, v31
	v_lshl_add_u32 v11, v10, 1, 0
	v_pack_b32_f16 v10, v32, v53
	v_pack_b32_f16 v12, v24, v30
	v_mul_f16_e32 v40, 0x38b4, v40
	v_sub_f16_e32 v19, v19, v41
	v_sub_f16_e32 v14, v14, v54
	ds_write2_b32 v11, v12, v10 offset1:1
	v_pack_b32_f16 v10, v28, v31
	v_pack_b32_f16 v12, v56, v26
	v_fma_f16 v25, v25, s11, v40
	v_mul_f16_e32 v40, 0x3b9c, v42
	ds_write2_b32 v11, v12, v10 offset0:2 offset1:3
	v_pack_b32_f16 v10, v19, v14
	s_movk_i32 s14, 0xffee
	v_fma_f16 v29, v29, s4, v40
	ds_write_b32 v11, v10 offset:16
	v_mad_i32_i24 v10, v4, s14, v82
	v_mad_i32_i24 v14, v7, s14, v11
	v_pack_b32_f16 v18, v71, v77
	v_pack_b32_f16 v19, v76, v65
	v_add_f16_e32 v67, v38, v23
	v_add_f16_e32 v69, v33, v25
	;; [unrolled: 1-line block ×3, first 2 shown]
	v_sub_f16_e32 v45, v23, v38
	v_sub_f16_e32 v54, v33, v25
	;; [unrolled: 1-line block ×3, first 2 shown]
	s_waitcnt lgkmcnt(0)
	s_barrier
	v_lshl_add_u32 v12, v5, 1, 0
	v_mad_i32_i24 v13, v6, s14, v9
	ds_read_u16 v23, v10
	ds_read_u16 v31, v10 offset:960
	ds_read_u16 v25, v10 offset:4560
	;; [unrolled: 1-line block ×4, first 2 shown]
	ds_read_u16 v15, v14
	ds_read_u16 v37, v10 offset:2400
	ds_read_u16 v68, v10 offset:2160
	;; [unrolled: 1-line block ×21, first 2 shown]
	ds_read_u16 v21, v13
	ds_read_u16 v86, v12
	ds_read_u16 v32, v10 offset:6960
	s_waitcnt lgkmcnt(0)
	s_barrier
	ds_write2_b32 v82, v19, v18 offset1:1
	v_pack_b32_f16 v18, v66, v58
	v_pack_b32_f16 v19, v43, v64
	ds_write2_b32 v82, v19, v18 offset0:2 offset1:3
	v_pack_b32_f16 v18, v20, v46
	ds_write_b32 v82, v18 offset:16
	v_pack_b32_f16 v18, v63, v74
	v_pack_b32_f16 v19, v72, v55
	ds_write2_b32 v9, v19, v18 offset1:1
	v_pack_b32_f16 v18, v44, v48
	v_pack_b32_f16 v19, v52, v50
	;; [unrolled: 1-line block ×4, first 2 shown]
	s_movk_i32 s14, 0xcd
	ds_write2_b32 v9, v19, v18 offset0:2 offset1:3
	ds_write_b32 v9, v3 offset:16
	v_pack_b32_f16 v3, v78, v79
	v_pack_b32_f16 v17, v67, v69
	ds_write_b32 v11, v2 offset:16
	v_mul_lo_u16_sdwa v2, v4, s14 dst_sel:DWORD dst_unused:UNUSED_PAD src0_sel:BYTE_0 src1_sel:DWORD
	ds_write2_b32 v11, v17, v3 offset1:1
	v_pack_b32_f16 v3, v54, v81
	v_pack_b32_f16 v17, v80, v45
	v_lshrrev_b16_e32 v2, 11, v2
	ds_write2_b32 v11, v17, v3 offset0:2 offset1:3
	v_mul_lo_u16_e32 v3, 10, v2
	v_sub_u16_e32 v3, v4, v3
	v_mov_b32_e32 v16, 9
	v_mul_u32_u24_sdwa v17, v3, v16 dst_sel:DWORD dst_unused:UNUSED_PAD src0_sel:BYTE_0 src1_sel:DWORD
	v_lshlrev_b32_e32 v67, 2, v17
	s_waitcnt lgkmcnt(0)
	s_barrier
	global_load_dwordx4 v[43:46], v67, s[8:9]
	global_load_dwordx4 v[47:50], v67, s[8:9] offset:16
	v_mul_lo_u16_sdwa v17, v6, s14 dst_sel:DWORD dst_unused:UNUSED_PAD src0_sel:BYTE_0 src1_sel:DWORD
	v_lshrrev_b16_e32 v17, 11, v17
	v_mul_lo_u16_e32 v18, 10, v17
	v_sub_u16_e32 v18, v6, v18
	v_mul_u32_u24_sdwa v16, v18, v16 dst_sel:DWORD dst_unused:UNUSED_PAD src0_sel:BYTE_0 src1_sel:DWORD
	v_lshlrev_b32_e32 v69, 2, v16
	global_load_dwordx4 v[51:54], v69, s[8:9]
	ds_read_u16 v63, v12
	ds_read_u16 v22, v13
	;; [unrolled: 1-line block ×3, first 2 shown]
	ds_read_u16 v71, v10 offset:2400
	ds_read_u16 v72, v10 offset:2160
	ds_read_u16 v74, v10 offset:1920
	ds_read_u16 v76, v10 offset:1680
	ds_read_u16 v77, v10 offset:1440
	ds_read_u16 v78, v10 offset:1200
	global_load_dwordx4 v[55:58], v69, s[8:9] offset:16
	s_mov_b32 s14, 0xcccd
	v_mul_u32_u24_sdwa v19, v7, s14 dst_sel:DWORD dst_unused:UNUSED_PAD src0_sel:WORD_0 src1_sel:DWORD
	v_lshrrev_b32_e32 v19, 19, v19
	v_mul_lo_u16_e32 v20, 10, v19
	v_sub_u16_e32 v20, v7, v20
	v_mul_u32_u24_e32 v59, 9, v20
	v_lshlrev_b32_e32 v91, 2, v59
	ds_read_u16 v79, v10 offset:4320
	ds_read_u16 v80, v10 offset:4080
	;; [unrolled: 1-line block ×8, first 2 shown]
	global_load_dwordx4 v[59:62], v91, s[8:9]
	ds_read_u16 v92, v10 offset:6240
	ds_read_u16 v93, v10 offset:6000
	;; [unrolled: 1-line block ×8, first 2 shown]
	global_load_dword v67, v67, s[8:9] offset:32
	v_mul_u32_u24_e32 v2, 0xc8, v2
	s_waitcnt vmcnt(5) lgkmcnt(14)
	v_mul_f16_sdwa v64, v63, v43 dst_sel:DWORD dst_unused:UNUSED_PAD src0_sel:DWORD src1_sel:WORD_1
	v_fma_f16 v100, v86, v43, v64
	v_mul_f16_sdwa v64, v86, v43 dst_sel:DWORD dst_unused:UNUSED_PAD src0_sel:DWORD src1_sel:WORD_1
	v_fma_f16 v43, v63, v43, -v64
	v_mul_f16_sdwa v63, v77, v44 dst_sel:DWORD dst_unused:UNUSED_PAD src0_sel:DWORD src1_sel:WORD_1
	v_fma_f16 v86, v70, v44, v63
	global_load_dwordx4 v[63:66], v91, s[8:9] offset:16
	v_mul_f16_sdwa v70, v70, v44 dst_sel:DWORD dst_unused:UNUSED_PAD src0_sel:DWORD src1_sel:WORD_1
	v_fma_f16 v70, v77, v44, -v70
	v_mul_f16_sdwa v44, v72, v45 dst_sel:DWORD dst_unused:UNUSED_PAD src0_sel:DWORD src1_sel:WORD_1
	v_fma_f16 v77, v68, v45, v44
	v_mul_f16_sdwa v44, v68, v45 dst_sel:DWORD dst_unused:UNUSED_PAD src0_sel:DWORD src1_sel:WORD_1
	v_fma_f16 v45, v72, v45, -v44
	s_waitcnt lgkmcnt(9)
	v_mul_f16_sdwa v44, v89, v46 dst_sel:DWORD dst_unused:UNUSED_PAD src0_sel:DWORD src1_sel:WORD_1
	v_fma_f16 v68, v83, v46, v44
	v_mul_f16_sdwa v44, v83, v46 dst_sel:DWORD dst_unused:UNUSED_PAD src0_sel:DWORD src1_sel:WORD_1
	v_fma_f16 v72, v89, v46, -v44
	global_load_dword v89, v91, s[8:9] offset:32
	s_waitcnt vmcnt(6)
	v_mul_f16_sdwa v44, v82, v47 dst_sel:DWORD dst_unused:UNUSED_PAD src0_sel:DWORD src1_sel:WORD_1
	global_load_dword v69, v69, s[8:9] offset:32
	v_fma_f16 v83, v75, v47, v44
	v_mul_f16_sdwa v44, v75, v47 dst_sel:DWORD dst_unused:UNUSED_PAD src0_sel:DWORD src1_sel:WORD_1
	v_fma_f16 v75, v82, v47, -v44
	v_mul_f16_sdwa v44, v79, v48 dst_sel:DWORD dst_unused:UNUSED_PAD src0_sel:DWORD src1_sel:WORD_1
	v_fma_f16 v82, v73, v48, v44
	v_mul_f16_sdwa v44, v73, v48 dst_sel:DWORD dst_unused:UNUSED_PAD src0_sel:DWORD src1_sel:WORD_1
	ds_read_u16 v46, v10 offset:960
	v_fma_f16 v73, v79, v48, -v44
	s_waitcnt lgkmcnt(3)
	v_mul_f16_sdwa v44, v97, v49 dst_sel:DWORD dst_unused:UNUSED_PAD src0_sel:DWORD src1_sel:WORD_1
	v_fma_f16 v79, v85, v49, v44
	v_mul_f16_sdwa v44, v85, v49 dst_sel:DWORD dst_unused:UNUSED_PAD src0_sel:DWORD src1_sel:WORD_1
	v_fma_f16 v85, v97, v49, -v44
	v_mul_f16_sdwa v44, v94, v50 dst_sel:DWORD dst_unused:UNUSED_PAD src0_sel:DWORD src1_sel:WORD_1
	v_fma_f16 v91, v84, v50, v44
	v_mul_f16_sdwa v44, v84, v50 dst_sel:DWORD dst_unused:UNUSED_PAD src0_sel:DWORD src1_sel:WORD_1
	v_fma_f16 v84, v94, v50, -v44
	ds_read_u16 v94, v10
	s_waitcnt vmcnt(6) lgkmcnt(1)
	v_mul_f16_sdwa v44, v46, v51 dst_sel:DWORD dst_unused:UNUSED_PAD src0_sel:DWORD src1_sel:WORD_1
	v_fma_f16 v97, v31, v51, v44
	v_mul_f16_sdwa v31, v31, v51 dst_sel:DWORD dst_unused:UNUSED_PAD src0_sel:DWORD src1_sel:WORD_1
	v_fma_f16 v101, v46, v51, -v31
	v_mul_f16_sdwa v31, v76, v52 dst_sel:DWORD dst_unused:UNUSED_PAD src0_sel:DWORD src1_sel:WORD_1
	v_fma_f16 v102, v41, v52, v31
	v_mul_f16_sdwa v31, v41, v52 dst_sel:DWORD dst_unused:UNUSED_PAD src0_sel:DWORD src1_sel:WORD_1
	v_fma_f16 v76, v76, v52, -v31
	;; [unrolled: 4-line block ×4, first 2 shown]
	ds_read_u16 v31, v10 offset:4560
	s_waitcnt vmcnt(5)
	v_mul_f16_sdwa v37, v81, v55 dst_sel:DWORD dst_unused:UNUSED_PAD src0_sel:DWORD src1_sel:WORD_1
	v_fma_f16 v105, v39, v55, v37
	v_mul_f16_sdwa v37, v39, v55 dst_sel:DWORD dst_unused:UNUSED_PAD src0_sel:DWORD src1_sel:WORD_1
	v_fma_f16 v81, v81, v55, -v37
	s_waitcnt lgkmcnt(0)
	v_mul_f16_sdwa v37, v31, v56 dst_sel:DWORD dst_unused:UNUSED_PAD src0_sel:DWORD src1_sel:WORD_1
	v_fma_f16 v106, v25, v56, v37
	v_mul_f16_sdwa v25, v25, v56 dst_sel:DWORD dst_unused:UNUSED_PAD src0_sel:DWORD src1_sel:WORD_1
	v_fma_f16 v107, v31, v56, -v25
	v_mul_f16_sdwa v25, v96, v57 dst_sel:DWORD dst_unused:UNUSED_PAD src0_sel:DWORD src1_sel:WORD_1
	v_fma_f16 v108, v40, v57, v25
	v_mul_f16_sdwa v25, v40, v57 dst_sel:DWORD dst_unused:UNUSED_PAD src0_sel:DWORD src1_sel:WORD_1
	v_fma_f16 v96, v96, v57, -v25
	;; [unrolled: 4-line block ×3, first 2 shown]
	s_waitcnt vmcnt(4)
	v_mul_f16_sdwa v25, v78, v59 dst_sel:DWORD dst_unused:UNUSED_PAD src0_sel:DWORD src1_sel:WORD_1
	v_fma_f16 v31, v30, v59, v25
	v_mul_f16_sdwa v25, v30, v59 dst_sel:DWORD dst_unused:UNUSED_PAD src0_sel:DWORD src1_sel:WORD_1
	v_mul_f16_sdwa v30, v74, v60 dst_sel:DWORD dst_unused:UNUSED_PAD src0_sel:DWORD src1_sel:WORD_1
	v_fma_f16 v48, v27, v60, v30
	v_mul_f16_sdwa v27, v27, v60 dst_sel:DWORD dst_unused:UNUSED_PAD src0_sel:DWORD src1_sel:WORD_1
	v_fma_f16 v44, v74, v60, -v27
	v_mul_f16_sdwa v27, v90, v61 dst_sel:DWORD dst_unused:UNUSED_PAD src0_sel:DWORD src1_sel:WORD_1
	v_fma_f16 v30, v36, v61, v27
	v_mul_f16_sdwa v27, v36, v61 dst_sel:DWORD dst_unused:UNUSED_PAD src0_sel:DWORD src1_sel:WORD_1
	v_mul_f16_sdwa v36, v87, v62 dst_sel:DWORD dst_unused:UNUSED_PAD src0_sel:DWORD src1_sel:WORD_1
	v_fma_f16 v50, v33, v62, v36
	ds_read_u16 v37, v10 offset:6480
	v_fma_f16 v25, v78, v59, -v25
	v_fma_f16 v27, v90, v61, -v27
	v_mul_f16_sdwa v33, v33, v62 dst_sel:DWORD dst_unused:UNUSED_PAD src0_sel:DWORD src1_sel:WORD_1
	s_waitcnt vmcnt(2)
	v_mul_f16_sdwa v36, v98, v64 dst_sel:DWORD dst_unused:UNUSED_PAD src0_sel:DWORD src1_sel:WORD_1
	v_fma_f16 v51, v35, v64, v36
	v_mul_f16_sdwa v36, v92, v66 dst_sel:DWORD dst_unused:UNUSED_PAD src0_sel:DWORD src1_sel:WORD_1
	v_fma_f16 v59, v34, v66, v36
	v_mul_f16_sdwa v34, v34, v66 dst_sel:DWORD dst_unused:UNUSED_PAD src0_sel:DWORD src1_sel:WORD_1
	v_fma_f16 v49, v92, v66, -v34
	ds_read_u16 v34, v10 offset:6720
	s_waitcnt lgkmcnt(1)
	v_mul_f16_sdwa v36, v37, v67 dst_sel:DWORD dst_unused:UNUSED_PAD src0_sel:DWORD src1_sel:WORD_1
	v_fma_f16 v36, v26, v67, v36
	v_mul_f16_sdwa v26, v26, v67 dst_sel:DWORD dst_unused:UNUSED_PAD src0_sel:DWORD src1_sel:WORD_1
	v_fma_f16 v37, v37, v67, -v26
	v_fma_f16 v46, v87, v62, -v33
	v_sub_f16_e32 v38, v86, v68
	s_waitcnt vmcnt(0) lgkmcnt(0)
	v_mul_f16_sdwa v26, v34, v69 dst_sel:DWORD dst_unused:UNUSED_PAD src0_sel:DWORD src1_sel:WORD_1
	v_fma_f16 v61, v24, v69, v26
	v_mul_f16_sdwa v24, v24, v69 dst_sel:DWORD dst_unused:UNUSED_PAD src0_sel:DWORD src1_sel:WORD_1
	v_fma_f16 v62, v34, v69, -v24
	v_mul_f16_sdwa v24, v99, v89 dst_sel:DWORD dst_unused:UNUSED_PAD src0_sel:DWORD src1_sel:WORD_1
	v_fma_f16 v26, v32, v89, v24
	v_mul_f16_sdwa v24, v32, v89 dst_sel:DWORD dst_unused:UNUSED_PAD src0_sel:DWORD src1_sel:WORD_1
	v_add_f16_e32 v32, v68, v82
	v_fma_f16 v32, v32, -0.5, v23
	v_sub_f16_e32 v34, v70, v84
	v_sub_f16_e32 v39, v91, v82
	v_add_f16_e32 v38, v38, v39
	v_fma_f16 v39, v34, s6, v32
	v_sub_f16_e32 v40, v72, v73
	v_fma_f16 v32, v34, s1, v32
	v_fma_f16 v39, v40, s5, v39
	;; [unrolled: 1-line block ×5, first 2 shown]
	v_sub_f16_e32 v32, v68, v86
	v_sub_f16_e32 v41, v82, v91
	v_add_f16_e32 v32, v32, v41
	v_add_f16_e32 v41, v86, v91
	v_fma_f16 v41, v41, -0.5, v23
	v_fma_f16 v42, v40, s1, v41
	v_fma_f16 v40, v40, s6, v41
	;; [unrolled: 1-line block ×3, first 2 shown]
	v_sub_f16_e32 v42, v70, v72
	v_sub_f16_e32 v52, v84, v73
	v_fma_f16 v34, v34, s0, v40
	v_add_f16_e32 v42, v42, v52
	v_add_f16_e32 v52, v72, v73
	v_fma_f16 v40, v32, s4, v41
	v_fma_f16 v34, v32, s4, v34
	v_sub_f16_e32 v32, v86, v91
	v_fma_f16 v52, v52, -0.5, v94
	v_sub_f16_e32 v41, v68, v82
	v_fma_f16 v53, v32, s1, v52
	v_fma_f16 v52, v32, s6, v52
	v_mul_f16_sdwa v35, v35, v64 dst_sel:DWORD dst_unused:UNUSED_PAD src0_sel:DWORD src1_sel:WORD_1
	v_fma_f16 v52, v41, s5, v52
	v_mul_f16_sdwa v33, v80, v63 dst_sel:DWORD dst_unused:UNUSED_PAD src0_sel:DWORD src1_sel:WORD_1
	v_fma_f16 v47, v98, v64, -v35
	v_fma_f16 v64, v42, s4, v52
	v_add_f16_e32 v52, v94, v70
	v_fma_f16 v33, v28, v63, v33
	v_mul_f16_sdwa v28, v28, v63 dst_sel:DWORD dst_unused:UNUSED_PAD src0_sel:DWORD src1_sel:WORD_1
	v_mul_f16_sdwa v35, v95, v65 dst_sel:DWORD dst_unused:UNUSED_PAD src0_sel:DWORD src1_sel:WORD_1
	v_fma_f16 v53, v41, s0, v53
	v_add_f16_e32 v52, v52, v72
	v_fma_f16 v28, v80, v63, -v28
	v_fma_f16 v35, v29, v65, v35
	v_mul_f16_sdwa v29, v29, v65 dst_sel:DWORD dst_unused:UNUSED_PAD src0_sel:DWORD src1_sel:WORD_1
	v_fma_f16 v63, v42, s4, v53
	v_add_f16_e32 v42, v70, v84
	v_add_f16_e32 v52, v52, v73
	v_fma_f16 v29, v95, v65, -v29
	v_fma_f16 v42, v42, -0.5, v94
	v_sub_f16_e32 v53, v72, v70
	v_add_f16_e32 v65, v52, v84
	v_sub_f16_e32 v52, v73, v84
	v_add_f16_e32 v52, v53, v52
	v_fma_f16 v53, v41, s6, v42
	v_fma_f16 v41, v41, s1, v42
	;; [unrolled: 1-line block ×6, first 2 shown]
	v_add_f16_e32 v32, v83, v79
	v_sub_f16_e32 v41, v77, v83
	v_sub_f16_e32 v52, v36, v79
	v_fma_f16 v32, v32, -0.5, v100
	v_add_f16_e32 v41, v41, v52
	v_sub_f16_e32 v52, v45, v37
	v_fma_f16 v53, v52, s6, v32
	v_sub_f16_e32 v54, v75, v85
	v_fma_f16 v32, v52, s1, v32
	v_fma_f16 v53, v54, s5, v53
	;; [unrolled: 1-line block ×5, first 2 shown]
	v_sub_f16_e32 v32, v83, v77
	v_sub_f16_e32 v55, v79, v36
	v_add_f16_e32 v32, v32, v55
	v_add_f16_e32 v55, v77, v36
	v_fma_f16 v55, v55, -0.5, v100
	v_fma_f16 v56, v54, s1, v55
	v_fma_f16 v54, v54, s6, v55
	;; [unrolled: 1-line block ×6, first 2 shown]
	v_add_f16_e32 v32, v100, v77
	v_add_f16_e32 v32, v32, v83
	v_sub_f16_e32 v56, v45, v75
	v_sub_f16_e32 v57, v37, v85
	v_add_f16_e32 v32, v32, v79
	v_add_f16_e32 v56, v56, v57
	;; [unrolled: 1-line block ×4, first 2 shown]
	v_sub_f16_e32 v32, v77, v36
	v_fma_f16 v57, v57, -0.5, v43
	v_sub_f16_e32 v36, v83, v79
	v_fma_f16 v58, v32, s1, v57
	v_fma_f16 v57, v32, s6, v57
	;; [unrolled: 1-line block ×6, first 2 shown]
	v_add_f16_e32 v57, v45, v37
	v_fma_f16 v57, v57, -0.5, v43
	v_add_f16_e32 v43, v43, v45
	v_add_f16_e32 v43, v43, v75
	;; [unrolled: 1-line block ×3, first 2 shown]
	v_sub_f16_e32 v45, v75, v45
	v_add_f16_e32 v43, v43, v37
	v_sub_f16_e32 v37, v85, v37
	v_add_f16_e32 v37, v45, v37
	v_fma_f16 v45, v36, s6, v57
	v_fma_f16 v36, v36, s1, v57
	v_fma_f16 v45, v32, s0, v45
	v_fma_f16 v32, v32, s5, v36
	v_fma_f16 v60, v37, s4, v45
	v_fma_f16 v36, v37, s4, v32
	v_mul_f16_e32 v37, 0xb8b4, v58
	v_mul_f16_e32 v57, 0x3a79, v58
	v_fma_f16 v37, v53, s11, v37
	v_fma_f16 v67, v53, s0, v57
	v_mul_f16_e32 v53, 0xbb9c, v60
	v_add_f16_e32 v23, v23, v86
	v_fma_f16 v57, v54, s4, v53
	v_mul_f16_e32 v53, 0x34f2, v60
	v_add_f16_e32 v23, v23, v68
	v_fma_f16 v68, v54, s1, v53
	v_mul_f16_e32 v53, 0xbb9c, v36
	v_mul_f16_e32 v36, 0xb4f2, v36
	v_add_f16_e32 v23, v23, v82
	v_fma_f16 v58, v52, s10, v53
	v_fma_f16 v69, v52, s1, v36
	v_mul_f16_e32 v52, 0xba79, v56
	v_add_f16_e32 v23, v23, v91
	v_fma_f16 v70, v41, s0, v52
	v_add_f16_e32 v32, v23, v55
	v_add_f16_e32 v45, v39, v37
	v_mul_f16_e32 v36, 0xb8b4, v56
	v_add_f16_e32 v52, v40, v57
	v_sub_f16_e32 v53, v23, v55
	v_add_f16_e32 v54, v34, v58
	v_sub_f16_e32 v55, v39, v37
	v_sub_f16_e32 v57, v40, v57
	v_add_f16_e32 v23, v65, v43
	v_sub_f16_e32 v58, v34, v58
	v_add_f16_e32 v34, v63, v67
	v_sub_f16_e32 v37, v65, v43
	v_sub_f16_e32 v39, v63, v67
	;; [unrolled: 5-line block ×3, first 2 shown]
	v_fma_f16 v36, v41, s7, v36
	v_fma_f16 v63, v63, -0.5, v21
	v_add_f16_e32 v64, v64, v65
	v_sub_f16_e32 v65, v76, v93
	v_add_f16_e32 v56, v38, v36
	v_sub_f16_e32 v60, v38, v36
	;; [unrolled: 2-line block ×3, first 2 shown]
	v_fma_f16 v66, v65, s6, v63
	v_sub_f16_e32 v67, v88, v107
	v_fma_f16 v63, v65, s1, v63
	v_fma_f16 v66, v67, s5, v66
	;; [unrolled: 1-line block ×5, first 2 shown]
	v_sub_f16_e32 v64, v104, v102
	v_sub_f16_e32 v68, v106, v109
	v_add_f16_e32 v64, v64, v68
	v_add_f16_e32 v68, v102, v109
	v_fma_f16 v68, v68, -0.5, v21
	v_add_f16_e32 v38, v42, v69
	v_sub_f16_e32 v42, v42, v69
	v_fma_f16 v69, v67, s1, v68
	v_fma_f16 v67, v67, s6, v68
	;; [unrolled: 1-line block ×3, first 2 shown]
	v_sub_f16_e32 v69, v76, v88
	v_sub_f16_e32 v70, v93, v107
	v_fma_f16 v65, v65, s0, v67
	v_add_f16_e32 v69, v69, v70
	v_add_f16_e32 v70, v88, v107
	v_fma_f16 v67, v64, s4, v68
	v_fma_f16 v64, v64, s4, v65
	v_sub_f16_e32 v65, v102, v109
	v_fma_f16 v70, v70, -0.5, v22
	v_sub_f16_e32 v68, v104, v106
	v_fma_f16 v72, v65, s1, v70
	v_fma_f16 v70, v65, s6, v70
	;; [unrolled: 1-line block ×6, first 2 shown]
	v_add_f16_e32 v70, v76, v93
	v_fma_f16 v70, v70, -0.5, v22
	v_sub_f16_e32 v73, v88, v76
	v_sub_f16_e32 v74, v107, v93
	v_add_f16_e32 v73, v73, v74
	v_fma_f16 v74, v68, s6, v70
	v_fma_f16 v68, v68, s1, v70
	;; [unrolled: 1-line block ×6, first 2 shown]
	v_add_f16_e32 v68, v105, v108
	v_sub_f16_e32 v70, v103, v105
	v_sub_f16_e32 v73, v61, v108
	v_fma_f16 v68, v68, -0.5, v97
	v_add_f16_e32 v70, v70, v73
	v_sub_f16_e32 v73, v71, v62
	v_add_f16_e32 v22, v22, v76
	v_fma_f16 v75, v73, s6, v68
	v_sub_f16_e32 v76, v81, v96
	v_fma_f16 v68, v73, s1, v68
	v_fma_f16 v75, v76, s5, v75
	;; [unrolled: 1-line block ×5, first 2 shown]
	v_sub_f16_e32 v70, v105, v103
	v_sub_f16_e32 v77, v108, v61
	v_add_f16_e32 v70, v70, v77
	v_add_f16_e32 v77, v103, v61
	v_fma_f16 v77, v77, -0.5, v97
	v_fma_f16 v78, v76, s1, v77
	v_fma_f16 v76, v76, s6, v77
	;; [unrolled: 1-line block ×6, first 2 shown]
	v_add_f16_e32 v73, v97, v103
	v_add_f16_e32 v73, v73, v105
	v_sub_f16_e32 v78, v71, v81
	v_sub_f16_e32 v79, v62, v96
	v_add_f16_e32 v73, v73, v108
	v_add_f16_e32 v78, v78, v79
	;; [unrolled: 1-line block ×4, first 2 shown]
	v_sub_f16_e32 v61, v103, v61
	v_fma_f16 v79, v79, -0.5, v101
	v_sub_f16_e32 v77, v105, v108
	v_fma_f16 v80, v61, s1, v79
	v_fma_f16 v79, v61, s6, v79
	v_add_f16_e32 v82, v101, v71
	v_fma_f16 v80, v77, s0, v80
	v_fma_f16 v79, v77, s5, v79
	v_add_f16_e32 v82, v82, v81
	;; [unrolled: 3-line block ×3, first 2 shown]
	v_sub_f16_e32 v71, v81, v71
	v_add_f16_e32 v81, v82, v96
	v_fma_f16 v79, v79, -0.5, v101
	v_add_f16_e32 v81, v81, v62
	v_sub_f16_e32 v62, v96, v62
	v_add_f16_e32 v62, v71, v62
	v_fma_f16 v71, v77, s6, v79
	v_fma_f16 v71, v61, s0, v71
	;; [unrolled: 1-line block ×5, first 2 shown]
	v_mul_f16_e32 v77, 0xb8b4, v80
	v_mul_f16_e32 v80, 0x3a79, v80
	v_add_f16_e32 v21, v21, v102
	v_fma_f16 v61, v62, s4, v61
	v_fma_f16 v77, v75, s11, v77
	;; [unrolled: 1-line block ×3, first 2 shown]
	v_mul_f16_e32 v80, 0xbb9c, v71
	v_mul_f16_e32 v71, 0x34f2, v71
	v_add_f16_e32 v21, v21, v104
	v_add_f16_e32 v22, v22, v88
	v_fma_f16 v80, v76, s4, v80
	v_fma_f16 v71, v76, s1, v71
	v_mul_f16_e32 v76, 0xbb9c, v61
	v_mul_f16_e32 v61, 0xb4f2, v61
	v_add_f16_e32 v21, v21, v106
	v_add_f16_e32 v22, v22, v107
	v_fma_f16 v76, v70, s10, v76
	v_fma_f16 v61, v70, s1, v61
	;; [unrolled: 6-line block ×3, first 2 shown]
	v_add_f16_e32 v62, v21, v73
	v_add_f16_e32 v78, v67, v80
	v_sub_f16_e32 v21, v21, v73
	v_add_f16_e32 v73, v64, v76
	v_sub_f16_e32 v67, v67, v80
	;; [unrolled: 2-line block ×6, first 2 shown]
	v_sub_f16_e32 v68, v69, v68
	v_add_f16_e32 v22, v50, v51
	v_sub_f16_e32 v61, v48, v50
	v_sub_f16_e32 v69, v59, v51
	v_fma_f16 v22, v22, -0.5, v15
	v_add_f16_e32 v61, v61, v69
	v_sub_f16_e32 v69, v44, v49
	v_add_f16_e32 v79, v66, v77
	v_sub_f16_e32 v66, v66, v77
	;; [unrolled: 2-line block ×4, first 2 shown]
	v_fma_f16 v74, v69, s6, v22
	v_sub_f16_e32 v83, v46, v47
	v_fma_f16 v22, v69, s1, v22
	v_fma_f16 v74, v83, s5, v74
	;; [unrolled: 1-line block ×5, first 2 shown]
	v_sub_f16_e32 v61, v50, v48
	v_sub_f16_e32 v84, v51, v59
	v_add_f16_e32 v61, v61, v84
	v_add_f16_e32 v84, v48, v59
	v_fma_f16 v84, v84, -0.5, v15
	v_add_f16_e32 v15, v15, v48
	v_add_f16_e32 v15, v15, v50
	;; [unrolled: 1-line block ×4, first 2 shown]
	v_sub_f16_e32 v48, v48, v59
	v_sub_f16_e32 v50, v50, v51
	;; [unrolled: 1-line block ×4, first 2 shown]
	v_fma_f16 v85, v83, s1, v84
	v_fma_f16 v83, v83, s6, v84
	v_add_f16_e32 v51, v51, v59
	v_add_f16_e32 v59, v46, v47
	v_fma_f16 v84, v69, s5, v85
	v_fma_f16 v69, v69, s0, v83
	v_fma_f16 v59, v59, -0.5, v16
	v_fma_f16 v83, v61, s4, v84
	v_fma_f16 v61, v61, s4, v69
	;; [unrolled: 1-line block ×8, first 2 shown]
	v_add_f16_e32 v59, v44, v49
	v_fma_f16 v59, v59, -0.5, v16
	v_add_f16_e32 v16, v16, v44
	v_add_f16_e32 v16, v16, v46
	v_sub_f16_e32 v44, v46, v44
	v_sub_f16_e32 v46, v47, v49
	v_add_f16_e32 v16, v16, v47
	v_add_f16_e32 v44, v44, v46
	v_fma_f16 v46, v50, s6, v59
	v_fma_f16 v47, v50, s1, v59
	;; [unrolled: 1-line block ×4, first 2 shown]
	v_fma_f16 v24, v99, v89, -v24
	v_add_f16_e32 v16, v16, v49
	v_fma_f16 v46, v44, s4, v46
	v_fma_f16 v44, v44, s4, v47
	v_add_f16_e32 v47, v33, v35
	v_sub_f16_e32 v48, v30, v33
	v_sub_f16_e32 v49, v26, v35
	v_fma_f16 v47, v47, -0.5, v31
	v_add_f16_e32 v48, v48, v49
	v_sub_f16_e32 v49, v27, v24
	v_fma_f16 v50, v49, s6, v47
	v_sub_f16_e32 v59, v28, v29
	v_fma_f16 v47, v49, s1, v47
	v_fma_f16 v50, v59, s5, v50
	;; [unrolled: 1-line block ×5, first 2 shown]
	v_sub_f16_e32 v48, v33, v30
	v_sub_f16_e32 v84, v35, v26
	v_add_f16_e32 v48, v48, v84
	v_add_f16_e32 v84, v30, v26
	v_fma_f16 v84, v84, -0.5, v31
	v_add_f16_e32 v31, v31, v30
	v_add_f16_e32 v31, v31, v33
	;; [unrolled: 1-line block ×4, first 2 shown]
	v_sub_f16_e32 v26, v30, v26
	v_sub_f16_e32 v30, v33, v35
	;; [unrolled: 1-line block ×4, first 2 shown]
	v_fma_f16 v85, v59, s1, v84
	v_fma_f16 v59, v59, s6, v84
	v_add_f16_e32 v33, v33, v35
	v_add_f16_e32 v35, v28, v29
	v_fma_f16 v84, v49, s5, v85
	v_fma_f16 v49, v49, s0, v59
	v_fma_f16 v35, v35, -0.5, v25
	v_fma_f16 v59, v48, s4, v84
	v_fma_f16 v48, v48, s4, v49
	;; [unrolled: 1-line block ×8, first 2 shown]
	v_add_f16_e32 v35, v27, v24
	v_fma_f16 v35, v35, -0.5, v25
	v_add_f16_e32 v25, v25, v27
	v_add_f16_e32 v25, v25, v28
	;; [unrolled: 1-line block ×3, first 2 shown]
	v_sub_f16_e32 v27, v28, v27
	v_add_f16_e32 v25, v25, v24
	v_sub_f16_e32 v24, v29, v24
	v_add_f16_e32 v24, v27, v24
	v_fma_f16 v27, v30, s6, v35
	v_fma_f16 v28, v30, s1, v35
	;; [unrolled: 1-line block ×4, first 2 shown]
	v_mul_f16_e32 v28, 0xb8b4, v49
	v_fma_f16 v28, v50, s11, v28
	v_fma_f16 v27, v24, s4, v27
	;; [unrolled: 1-line block ×3, first 2 shown]
	v_add_f16_e32 v29, v74, v28
	v_sub_f16_e32 v28, v74, v28
	v_add_f16_e32 v74, v16, v25
	v_sub_f16_e32 v85, v16, v25
	v_mov_b32_e32 v16, 1
	v_mul_f16_e32 v30, 0x3a79, v49
	v_mul_f16_e32 v49, 0xbb9c, v24
	;; [unrolled: 1-line block ×3, first 2 shown]
	v_lshlrev_b32_sdwa v3, v16, v3 dst_sel:DWORD dst_unused:UNUSED_PAD src0_sel:DWORD src1_sel:BYTE_0
	v_mul_f16_e32 v35, 0xbb9c, v27
	v_fma_f16 v49, v48, s10, v49
	v_fma_f16 v24, v48, s1, v24
	v_mul_f16_e32 v48, 0xb8b4, v33
	v_add3_u32 v2, 0, v2, v3
	v_mul_u32_u24_e32 v3, 0xc8, v17
	v_lshlrev_b32_sdwa v17, v16, v18 dst_sel:DWORD dst_unused:UNUSED_PAD src0_sel:DWORD src1_sel:BYTE_0
	v_fma_f16 v35, v59, s4, v35
	v_mul_f16_e32 v27, 0x34f2, v27
	v_fma_f16 v48, v47, s7, v48
	v_mul_f16_e32 v33, 0xba79, v33
	v_add3_u32 v3, 0, v3, v17
	v_mul_u32_u24_e32 v17, 0xc8, v19
	v_lshlrev_b32_e32 v18, 1, v20
	v_add_f16_e32 v26, v15, v31
	v_fma_f16 v30, v50, s0, v30
	v_fma_f16 v27, v59, s1, v27
	;; [unrolled: 1-line block ×3, first 2 shown]
	v_add_f16_e32 v47, v83, v35
	v_sub_f16_e32 v15, v15, v31
	v_add_f16_e32 v31, v61, v49
	v_add_f16_e32 v50, v22, v48
	v_sub_f16_e32 v35, v83, v35
	v_sub_f16_e32 v49, v61, v49
	;; [unrolled: 1-line block ×3, first 2 shown]
	v_add3_u32 v18, 0, v17, v18
	s_movk_i32 s0, 0x64
	v_add_f16_e32 v83, v69, v30
	v_add_f16_e32 v84, v46, v27
	;; [unrolled: 1-line block ×3, first 2 shown]
	v_sub_f16_e32 v30, v69, v30
	v_add_f16_e32 v69, v51, v33
	v_sub_f16_e32 v87, v46, v27
	v_sub_f16_e32 v24, v44, v24
	;; [unrolled: 1-line block ×3, first 2 shown]
	s_barrier
	ds_write_b16 v2, v32
	ds_write_b16 v2, v45 offset:20
	ds_write_b16 v2, v52 offset:40
	ds_write_b16 v2, v54 offset:60
	ds_write_b16 v2, v56 offset:80
	ds_write_b16 v2, v53 offset:100
	ds_write_b16 v2, v55 offset:120
	ds_write_b16 v2, v57 offset:140
	ds_write_b16 v2, v58 offset:160
	ds_write_b16 v2, v60 offset:180
	ds_write_b16 v3, v62
	ds_write_b16 v3, v79 offset:20
	ds_write_b16 v3, v78 offset:40
	ds_write_b16 v3, v73 offset:60
	ds_write_b16 v3, v77 offset:80
	ds_write_b16 v3, v21 offset:100
	ds_write_b16 v3, v66 offset:120
	ds_write_b16 v3, v67 offset:140
	ds_write_b16 v3, v64 offset:160
	ds_write_b16 v3, v63 offset:180
	;; [unrolled: 10-line block ×3, first 2 shown]
	s_waitcnt lgkmcnt(0)
	s_barrier
	ds_read_u16 v32, v10 offset:6480
	ds_read_u16 v25, v10
	ds_read_u16 v61, v10 offset:1200
	ds_read_u16 v57, v10 offset:1440
	ds_read_u16 v54, v10 offset:1680
	ds_read_u16 v49, v10 offset:1920
	ds_read_u16 v53, v10 offset:2880
	ds_read_u16 v47, v10 offset:3120
	ds_read_u16 v59, v10 offset:4800
	ds_read_u16 v56, v10 offset:5040
	ds_read_u16 v51, v10 offset:5280
	ds_read_u16 v44, v10 offset:5520
	ds_read_u16 v26, v10 offset:6720
	v_lshl_add_u32 v15, v8, 1, 0
	ds_read_u16 v58, v10 offset:2640
	ds_read_u16 v62, v10 offset:2400
	;; [unrolled: 1-line block ×12, first 2 shown]
	ds_read_u16 v21, v14
	ds_read_u16 v22, v13
	;; [unrolled: 1-line block ×4, first 2 shown]
	ds_read_u16 v27, v10 offset:6960
	s_waitcnt lgkmcnt(0)
	s_barrier
	ds_write_b16 v2, v23
	ds_write_b16 v2, v34 offset:20
	ds_write_b16 v2, v36 offset:40
	ds_write_b16 v2, v38 offset:60
	ds_write_b16 v2, v40 offset:80
	ds_write_b16 v2, v37 offset:100
	ds_write_b16 v2, v39 offset:120
	ds_write_b16 v2, v41 offset:140
	ds_write_b16 v2, v42 offset:160
	ds_write_b16 v2, v43 offset:180
	ds_write_b16 v3, v80
	ds_write_b16 v3, v76 offset:20
	ds_write_b16 v3, v70 offset:40
	ds_write_b16 v3, v82 offset:60
	ds_write_b16 v3, v75 offset:80
	ds_write_b16 v3, v81 offset:100
	ds_write_b16 v3, v72 offset:120
	ds_write_b16 v3, v71 offset:140
	ds_write_b16 v3, v65 offset:160
	ds_write_b16 v3, v68 offset:180
	;; [unrolled: 10-line block ×3, first 2 shown]
	v_add_u32_e32 v2, 0xffffff9c, v4
	v_cmp_gt_u32_e64 s[0:1], s0, v4
	v_cndmask_b32_e64 v18, v2, v4, s[0:1]
	v_mul_i32_i24_e32 v2, 5, v18
	v_mov_b32_e32 v3, 0
	v_lshlrev_b64 v[23:24], 2, v[2:3]
	v_mov_b32_e32 v2, s9
	v_add_co_u32_e64 v76, s[0:1], s8, v23
	v_addc_co_u32_e64 v77, s[0:1], v2, v24, s[0:1]
	s_waitcnt lgkmcnt(0)
	s_barrier
	global_load_dwordx4 v[36:39], v[76:77], off offset:360
	v_mov_b32_e32 v2, 41
	v_mul_lo_u16_sdwa v2, v6, v2 dst_sel:DWORD dst_unused:UNUSED_PAD src0_sel:BYTE_0 src1_sel:DWORD
	v_lshrrev_b16_e32 v2, 12, v2
	v_mul_lo_u16_e32 v19, 0x64, v2
	v_sub_u16_e32 v19, v6, v19
	v_mov_b32_e32 v23, 5
	v_mul_u32_u24_sdwa v23, v19, v23 dst_sel:DWORD dst_unused:UNUSED_PAD src0_sel:BYTE_0 src1_sel:DWORD
	v_lshlrev_b32_e32 v34, 2, v23
	global_load_dwordx4 v[40:43], v34, s[8:9] offset:360
	v_lshrrev_b16_e32 v23, 2, v7
	v_mul_u32_u24_e32 v23, 0x147b, v23
	v_lshrrev_b32_e32 v23, 17, v23
	v_mul_lo_u16_e32 v24, 0x64, v23
	v_sub_u16_e32 v24, v7, v24
	v_mul_u32_u24_e32 v28, 5, v24
	v_lshlrev_b32_e32 v78, 2, v28
	global_load_dwordx4 v[64:67], v78, s[8:9] offset:360
	v_lshrrev_b16_e32 v28, 2, v5
	v_mul_u32_u24_e32 v28, 0x147b, v28
	v_lshrrev_b32_e32 v28, 17, v28
	v_mul_lo_u16_e32 v29, 0x64, v28
	v_sub_u16_e32 v29, v5, v29
	v_mul_u32_u24_e32 v30, 5, v29
	v_lshlrev_b32_e32 v30, 2, v30
	ds_read_u16 v79, v10 offset:6480
	ds_read_u16 v80, v10 offset:1200
	;; [unrolled: 1-line block ×5, first 2 shown]
	global_load_dword v84, v30, s[8:9] offset:376
	global_load_dwordx4 v[68:71], v30, s[8:9] offset:360
	v_lshrrev_b16_e32 v30, 2, v8
	v_mul_u32_u24_e32 v30, 0x147b, v30
	v_lshrrev_b32_e32 v30, 17, v30
	v_mul_lo_u16_e32 v31, 0x64, v30
	v_sub_u16_e32 v31, v8, v31
	v_mul_u32_u24_e32 v72, 5, v31
	v_lshlrev_b32_e32 v91, 2, v72
	ds_read_u16 v85, v10 offset:2640
	ds_read_u16 v86, v10 offset:2400
	;; [unrolled: 1-line block ×6, first 2 shown]
	global_load_dword v92, v91, s[8:9] offset:376
	global_load_dwordx4 v[72:75], v91, s[8:9] offset:360
	ds_read_u16 v91, v10 offset:3840
	ds_read_u16 v93, v10 offset:3600
	;; [unrolled: 1-line block ×8, first 2 shown]
	global_load_dword v34, v34, s[8:9] offset:376
	s_mov_b32 s4, 0xbaee
	global_load_dword v76, v[76:77], off offset:376
	s_movk_i32 s5, 0x3aee
	s_movk_i32 s0, 0x63
	v_cmp_lt_u32_e64 s[0:1], s0, v4
	v_lshlrev_b32_e32 v18, 1, v18
	v_mul_u32_u24_e32 v2, 0x4b0, v2
	v_lshlrev_b32_sdwa v16, v16, v19 dst_sel:DWORD dst_unused:UNUSED_PAD src0_sel:DWORD src1_sel:BYTE_0
	v_add3_u32 v2, 0, v2, v16
	v_mul_u32_u24_e32 v16, 0x4b0, v23
	s_waitcnt vmcnt(8) lgkmcnt(14)
	v_mul_f16_sdwa v100, v80, v36 dst_sel:DWORD dst_unused:UNUSED_PAD src0_sel:DWORD src1_sel:WORD_1
	v_fma_f16 v100, v61, v36, v100
	v_mul_f16_sdwa v61, v61, v36 dst_sel:DWORD dst_unused:UNUSED_PAD src0_sel:DWORD src1_sel:WORD_1
	v_fma_f16 v36, v80, v36, -v61
	s_waitcnt lgkmcnt(12)
	v_mul_f16_sdwa v61, v86, v37 dst_sel:DWORD dst_unused:UNUSED_PAD src0_sel:DWORD src1_sel:WORD_1
	v_fma_f16 v61, v62, v37, v61
	v_mul_f16_sdwa v62, v62, v37 dst_sel:DWORD dst_unused:UNUSED_PAD src0_sel:DWORD src1_sel:WORD_1
	v_fma_f16 v37, v86, v37, -v62
	s_waitcnt lgkmcnt(6)
	v_mul_f16_sdwa v62, v93, v38 dst_sel:DWORD dst_unused:UNUSED_PAD src0_sel:DWORD src1_sel:WORD_1
	v_fma_f16 v62, v63, v38, v62
	v_mul_f16_sdwa v63, v63, v38 dst_sel:DWORD dst_unused:UNUSED_PAD src0_sel:DWORD src1_sel:WORD_1
	v_fma_f16 v38, v93, v38, -v63
	global_load_dword v63, v78, s[8:9] offset:376
	s_waitcnt lgkmcnt(4)
	v_mul_f16_sdwa v86, v95, v39 dst_sel:DWORD dst_unused:UNUSED_PAD src0_sel:DWORD src1_sel:WORD_1
	v_fma_f16 v86, v59, v39, v86
	v_mul_f16_sdwa v59, v59, v39 dst_sel:DWORD dst_unused:UNUSED_PAD src0_sel:DWORD src1_sel:WORD_1
	v_fma_f16 v39, v95, v39, -v59
	s_waitcnt vmcnt(8)
	v_mul_f16_sdwa v59, v81, v40 dst_sel:DWORD dst_unused:UNUSED_PAD src0_sel:DWORD src1_sel:WORD_1
	v_fma_f16 v59, v57, v40, v59
	v_mul_f16_sdwa v57, v57, v40 dst_sel:DWORD dst_unused:UNUSED_PAD src0_sel:DWORD src1_sel:WORD_1
	v_fma_f16 v40, v81, v40, -v57
	v_mul_f16_sdwa v57, v85, v41 dst_sel:DWORD dst_unused:UNUSED_PAD src0_sel:DWORD src1_sel:WORD_1
	v_fma_f16 v57, v58, v41, v57
	v_mul_f16_sdwa v58, v58, v41 dst_sel:DWORD dst_unused:UNUSED_PAD src0_sel:DWORD src1_sel:WORD_1
	v_fma_f16 v41, v85, v41, -v58
	;; [unrolled: 4-line block ×3, first 2 shown]
	s_waitcnt lgkmcnt(3)
	v_mul_f16_sdwa v60, v96, v43 dst_sel:DWORD dst_unused:UNUSED_PAD src0_sel:DWORD src1_sel:WORD_1
	v_fma_f16 v60, v56, v43, v60
	v_mul_f16_sdwa v56, v56, v43 dst_sel:DWORD dst_unused:UNUSED_PAD src0_sel:DWORD src1_sel:WORD_1
	ds_read_u16 v77, v10
	ds_read_u16 v78, v10 offset:6240
	ds_read_u16 v80, v10 offset:6000
	v_fma_f16 v43, v96, v43, -v56
	ds_read_u16 v56, v10 offset:2880
	ds_read_u16 v81, v10 offset:3120
	s_waitcnt vmcnt(7)
	v_mul_f16_sdwa v85, v82, v64 dst_sel:DWORD dst_unused:UNUSED_PAD src0_sel:DWORD src1_sel:WORD_1
	v_fma_f16 v85, v54, v64, v85
	v_mul_f16_sdwa v54, v54, v64 dst_sel:DWORD dst_unused:UNUSED_PAD src0_sel:DWORD src1_sel:WORD_1
	v_fma_f16 v54, v82, v64, -v54
	s_waitcnt lgkmcnt(1)
	v_mul_f16_sdwa v64, v56, v65 dst_sel:DWORD dst_unused:UNUSED_PAD src0_sel:DWORD src1_sel:WORD_1
	v_fma_f16 v64, v53, v65, v64
	v_mul_f16_sdwa v53, v53, v65 dst_sel:DWORD dst_unused:UNUSED_PAD src0_sel:DWORD src1_sel:WORD_1
	v_fma_f16 v53, v56, v65, -v53
	v_mul_f16_sdwa v65, v97, v67 dst_sel:DWORD dst_unused:UNUSED_PAD src0_sel:DWORD src1_sel:WORD_1
	v_fma_f16 v65, v51, v67, v65
	v_mul_f16_sdwa v51, v51, v67 dst_sel:DWORD dst_unused:UNUSED_PAD src0_sel:DWORD src1_sel:WORD_1
	v_mul_f16_sdwa v56, v88, v66 dst_sel:DWORD dst_unused:UNUSED_PAD src0_sel:DWORD src1_sel:WORD_1
	v_fma_f16 v51, v97, v67, -v51
	s_waitcnt vmcnt(5) lgkmcnt(0)
	v_mul_f16_sdwa v67, v81, v69 dst_sel:DWORD dst_unused:UNUSED_PAD src0_sel:DWORD src1_sel:WORD_1
	v_fma_f16 v56, v55, v66, v56
	v_mul_f16_sdwa v55, v55, v66 dst_sel:DWORD dst_unused:UNUSED_PAD src0_sel:DWORD src1_sel:WORD_1
	v_fma_f16 v67, v47, v69, v67
	v_mul_f16_sdwa v47, v47, v69 dst_sel:DWORD dst_unused:UNUSED_PAD src0_sel:DWORD src1_sel:WORD_1
	v_fma_f16 v55, v88, v66, -v55
	v_mul_f16_sdwa v66, v83, v68 dst_sel:DWORD dst_unused:UNUSED_PAD src0_sel:DWORD src1_sel:WORD_1
	v_fma_f16 v47, v81, v69, -v47
	v_mul_f16_sdwa v69, v98, v71 dst_sel:DWORD dst_unused:UNUSED_PAD src0_sel:DWORD src1_sel:WORD_1
	v_fma_f16 v66, v49, v68, v66
	v_mul_f16_sdwa v49, v49, v68 dst_sel:DWORD dst_unused:UNUSED_PAD src0_sel:DWORD src1_sel:WORD_1
	v_fma_f16 v69, v44, v71, v69
	v_mul_f16_sdwa v44, v44, v71 dst_sel:DWORD dst_unused:UNUSED_PAD src0_sel:DWORD src1_sel:WORD_1
	v_fma_f16 v49, v83, v68, -v49
	v_mul_f16_sdwa v68, v89, v70 dst_sel:DWORD dst_unused:UNUSED_PAD src0_sel:DWORD src1_sel:WORD_1
	v_fma_f16 v44, v98, v71, -v44
	s_waitcnt vmcnt(3)
	v_mul_f16_sdwa v71, v94, v73 dst_sel:DWORD dst_unused:UNUSED_PAD src0_sel:DWORD src1_sel:WORD_1
	v_fma_f16 v68, v52, v70, v68
	v_mul_f16_sdwa v52, v52, v70 dst_sel:DWORD dst_unused:UNUSED_PAD src0_sel:DWORD src1_sel:WORD_1
	v_fma_f16 v71, v50, v73, v71
	v_mul_f16_sdwa v50, v50, v73 dst_sel:DWORD dst_unused:UNUSED_PAD src0_sel:DWORD src1_sel:WORD_1
	v_fma_f16 v52, v89, v70, -v52
	v_mul_f16_sdwa v70, v87, v72 dst_sel:DWORD dst_unused:UNUSED_PAD src0_sel:DWORD src1_sel:WORD_1
	v_fma_f16 v50, v94, v73, -v50
	v_mul_f16_sdwa v73, v99, v75 dst_sel:DWORD dst_unused:UNUSED_PAD src0_sel:DWORD src1_sel:WORD_1
	v_fma_f16 v70, v48, v72, v70
	v_mul_f16_sdwa v48, v48, v72 dst_sel:DWORD dst_unused:UNUSED_PAD src0_sel:DWORD src1_sel:WORD_1
	v_fma_f16 v73, v46, v75, v73
	v_mul_f16_sdwa v46, v46, v75 dst_sel:DWORD dst_unused:UNUSED_PAD src0_sel:DWORD src1_sel:WORD_1
	v_fma_f16 v48, v87, v72, -v48
	v_mul_f16_sdwa v72, v90, v74 dst_sel:DWORD dst_unused:UNUSED_PAD src0_sel:DWORD src1_sel:WORD_1
	v_fma_f16 v46, v99, v75, -v46
	s_waitcnt vmcnt(2)
	v_mul_f16_sdwa v75, v78, v34 dst_sel:DWORD dst_unused:UNUSED_PAD src0_sel:DWORD src1_sel:WORD_1
	v_fma_f16 v72, v45, v74, v72
	v_mul_f16_sdwa v45, v45, v74 dst_sel:DWORD dst_unused:UNUSED_PAD src0_sel:DWORD src1_sel:WORD_1
	v_fma_f16 v75, v33, v34, v75
	v_mul_f16_sdwa v33, v33, v34 dst_sel:DWORD dst_unused:UNUSED_PAD src0_sel:DWORD src1_sel:WORD_1
	v_fma_f16 v45, v90, v74, -v45
	s_waitcnt vmcnt(1)
	v_mul_f16_sdwa v74, v80, v76 dst_sel:DWORD dst_unused:UNUSED_PAD src0_sel:DWORD src1_sel:WORD_1
	v_fma_f16 v33, v78, v34, -v33
	v_fma_f16 v74, v35, v76, v74
	v_mul_f16_sdwa v35, v35, v76 dst_sel:DWORD dst_unused:UNUSED_PAD src0_sel:DWORD src1_sel:WORD_1
	v_fma_f16 v35, v80, v76, -v35
	s_waitcnt vmcnt(0)
	v_mul_f16_sdwa v34, v79, v63 dst_sel:DWORD dst_unused:UNUSED_PAD src0_sel:DWORD src1_sel:WORD_1
	v_fma_f16 v34, v32, v63, v34
	v_mul_f16_sdwa v32, v32, v63 dst_sel:DWORD dst_unused:UNUSED_PAD src0_sel:DWORD src1_sel:WORD_1
	v_fma_f16 v32, v79, v63, -v32
	ds_read_u16 v63, v10 offset:6720
	ds_read_u16 v76, v10 offset:6960
	ds_read_u16 v78, v14
	ds_read_u16 v79, v13
	;; [unrolled: 1-line block ×4, first 2 shown]
	s_waitcnt lgkmcnt(5)
	v_mul_f16_sdwa v82, v63, v84 dst_sel:DWORD dst_unused:UNUSED_PAD src0_sel:DWORD src1_sel:WORD_1
	v_fma_f16 v82, v26, v84, v82
	v_mul_f16_sdwa v26, v26, v84 dst_sel:DWORD dst_unused:UNUSED_PAD src0_sel:DWORD src1_sel:WORD_1
	v_fma_f16 v26, v63, v84, -v26
	s_waitcnt lgkmcnt(4)
	v_mul_f16_sdwa v63, v76, v92 dst_sel:DWORD dst_unused:UNUSED_PAD src0_sel:DWORD src1_sel:WORD_1
	v_fma_f16 v63, v27, v92, v63
	v_mul_f16_sdwa v27, v27, v92 dst_sel:DWORD dst_unused:UNUSED_PAD src0_sel:DWORD src1_sel:WORD_1
	v_fma_f16 v27, v76, v92, -v27
	v_add_f16_e32 v76, v61, v86
	v_fma_f16 v76, v76, -0.5, v25
	v_sub_f16_e32 v83, v37, v39
	v_fma_f16 v84, v83, s4, v76
	v_fma_f16 v76, v83, s5, v76
	v_add_f16_e32 v83, v77, v37
	v_add_f16_e32 v37, v37, v39
	;; [unrolled: 1-line block ×3, first 2 shown]
	v_fma_f16 v37, v37, -0.5, v77
	v_sub_f16_e32 v39, v61, v86
	v_add_f16_e32 v25, v25, v61
	v_fma_f16 v61, v39, s5, v37
	v_fma_f16 v37, v39, s4, v37
	v_add_f16_e32 v39, v62, v74
	v_fma_f16 v39, v39, -0.5, v100
	v_sub_f16_e32 v77, v38, v35
	v_add_f16_e32 v25, v25, v86
	v_fma_f16 v86, v77, s4, v39
	v_fma_f16 v39, v77, s5, v39
	v_add_f16_e32 v77, v36, v38
	v_add_f16_e32 v77, v77, v35
	;; [unrolled: 1-line block ×3, first 2 shown]
	v_fma_f16 v35, v35, -0.5, v36
	v_sub_f16_e32 v38, v62, v74
	v_add_f16_e32 v36, v100, v62
	v_fma_f16 v62, v38, s5, v35
	v_fma_f16 v35, v38, s4, v35
	v_add_f16_e32 v36, v36, v74
	v_mul_f16_e32 v38, 0xbaee, v62
	v_mul_f16_e32 v62, 0.5, v62
	v_mul_f16_e32 v74, 0xbaee, v35
	v_mul_f16_e32 v35, -0.5, v35
	v_fma_f16 v38, v86, 0.5, v38
	v_fma_f16 v62, v86, s5, v62
	v_fma_f16 v74, v39, -0.5, v74
	v_fma_f16 v35, v39, s5, v35
	v_add_f16_e32 v39, v25, v36
	v_sub_f16_e32 v25, v25, v36
	v_add_f16_e32 v36, v84, v38
	v_sub_f16_e32 v38, v84, v38
	;; [unrolled: 2-line block ×6, first 2 shown]
	v_add_f16_e32 v35, v57, v60
	v_fma_f16 v35, v35, -0.5, v22
	v_sub_f16_e32 v37, v41, v43
	v_fma_f16 v87, v37, s4, v35
	v_fma_f16 v35, v37, s5, v35
	s_waitcnt lgkmcnt(2)
	v_add_f16_e32 v37, v79, v41
	v_add_f16_e32 v41, v41, v43
	;; [unrolled: 1-line block ×3, first 2 shown]
	v_fma_f16 v41, v41, -0.5, v79
	v_sub_f16_e32 v43, v57, v60
	v_add_f16_e32 v22, v22, v57
	v_fma_f16 v57, v43, s5, v41
	v_fma_f16 v41, v43, s4, v41
	v_add_f16_e32 v43, v58, v75
	v_add_f16_e32 v22, v22, v60
	v_fma_f16 v43, v43, -0.5, v59
	v_sub_f16_e32 v60, v42, v33
	v_fma_f16 v79, v60, s4, v43
	v_fma_f16 v43, v60, s5, v43
	v_add_f16_e32 v60, v40, v42
	v_add_f16_e32 v60, v60, v33
	;; [unrolled: 1-line block ×3, first 2 shown]
	v_fma_f16 v33, v33, -0.5, v40
	v_sub_f16_e32 v42, v58, v75
	v_add_f16_e32 v40, v59, v58
	v_fma_f16 v58, v42, s5, v33
	v_fma_f16 v33, v42, s4, v33
	v_mul_f16_e32 v42, 0xbaee, v58
	v_mul_f16_e32 v58, 0.5, v58
	v_mul_f16_e32 v59, 0xbaee, v33
	v_mul_f16_e32 v33, -0.5, v33
	v_add_f16_e32 v40, v40, v75
	v_fma_f16 v42, v79, 0.5, v42
	v_fma_f16 v58, v79, s5, v58
	v_fma_f16 v33, v43, s5, v33
	v_fma_f16 v59, v43, -0.5, v59
	v_add_f16_e32 v43, v22, v40
	v_sub_f16_e32 v22, v22, v40
	v_add_f16_e32 v40, v87, v42
	v_sub_f16_e32 v42, v87, v42
	;; [unrolled: 2-line block ×4, first 2 shown]
	v_add_f16_e32 v33, v64, v65
	v_add_f16_e32 v75, v35, v59
	v_sub_f16_e32 v35, v35, v59
	v_add_f16_e32 v59, v37, v60
	v_sub_f16_e32 v60, v37, v60
	v_fma_f16 v33, v33, -0.5, v21
	v_sub_f16_e32 v37, v53, v51
	v_fma_f16 v41, v37, s4, v33
	v_fma_f16 v33, v37, s5, v33
	v_add_f16_e32 v37, v78, v53
	v_add_f16_e32 v37, v37, v51
	;; [unrolled: 1-line block ×3, first 2 shown]
	v_fma_f16 v51, v51, -0.5, v78
	v_sub_f16_e32 v53, v64, v65
	v_add_f16_e32 v21, v21, v64
	v_fma_f16 v64, v53, s5, v51
	v_fma_f16 v51, v53, s4, v51
	v_add_f16_e32 v53, v56, v34
	v_add_f16_e32 v21, v21, v65
	v_fma_f16 v53, v53, -0.5, v85
	v_sub_f16_e32 v65, v55, v32
	v_fma_f16 v78, v65, s4, v53
	v_fma_f16 v53, v65, s5, v53
	v_add_f16_e32 v65, v54, v55
	v_add_f16_e32 v65, v65, v32
	;; [unrolled: 1-line block ×3, first 2 shown]
	v_fma_f16 v32, v32, -0.5, v54
	v_add_f16_e32 v54, v85, v56
	v_add_f16_e32 v54, v54, v34
	v_sub_f16_e32 v34, v56, v34
	v_fma_f16 v55, v34, s5, v32
	v_fma_f16 v32, v34, s4, v32
	v_mul_f16_e32 v34, 0xbaee, v55
	v_mul_f16_e32 v55, 0.5, v55
	v_mul_f16_e32 v56, 0xbaee, v32
	v_mul_f16_e32 v32, -0.5, v32
	v_fma_f16 v55, v78, s5, v55
	v_fma_f16 v32, v53, s5, v32
	v_fma_f16 v34, v78, 0.5, v34
	v_fma_f16 v56, v53, -0.5, v56
	v_add_f16_e32 v78, v64, v55
	v_sub_f16_e32 v55, v64, v55
	v_add_f16_e32 v64, v51, v32
	v_sub_f16_e32 v51, v51, v32
	v_add_f16_e32 v32, v67, v69
	v_add_f16_e32 v53, v21, v54
	v_sub_f16_e32 v21, v21, v54
	v_add_f16_e32 v54, v41, v34
	v_sub_f16_e32 v34, v41, v34
	;; [unrolled: 2-line block ×4, first 2 shown]
	v_fma_f16 v32, v32, -0.5, v20
	v_sub_f16_e32 v37, v47, v44
	v_fma_f16 v85, v37, s4, v32
	v_fma_f16 v32, v37, s5, v32
	s_waitcnt lgkmcnt(0)
	v_add_f16_e32 v37, v81, v47
	v_add_f16_e32 v37, v37, v44
	;; [unrolled: 1-line block ×3, first 2 shown]
	v_fma_f16 v44, v44, -0.5, v81
	v_sub_f16_e32 v47, v67, v69
	v_add_f16_e32 v20, v20, v67
	v_fma_f16 v67, v47, s5, v44
	v_fma_f16 v44, v47, s4, v44
	v_add_f16_e32 v47, v68, v82
	v_add_f16_e32 v20, v20, v69
	v_fma_f16 v47, v47, -0.5, v66
	v_sub_f16_e32 v69, v52, v26
	v_fma_f16 v81, v69, s4, v47
	v_fma_f16 v47, v69, s5, v47
	v_add_f16_e32 v69, v49, v52
	v_add_f16_e32 v69, v69, v26
	;; [unrolled: 1-line block ×3, first 2 shown]
	v_fma_f16 v26, v26, -0.5, v49
	v_sub_f16_e32 v52, v68, v82
	v_add_f16_e32 v49, v66, v68
	v_fma_f16 v66, v52, s5, v26
	v_fma_f16 v26, v52, s4, v26
	v_mul_f16_e32 v52, 0xbaee, v66
	v_mul_f16_e32 v66, 0.5, v66
	v_mul_f16_e32 v68, 0xbaee, v26
	v_mul_f16_e32 v26, -0.5, v26
	v_add_f16_e32 v49, v49, v82
	v_fma_f16 v52, v81, 0.5, v52
	v_fma_f16 v66, v81, s5, v66
	v_fma_f16 v26, v47, s5, v26
	v_fma_f16 v68, v47, -0.5, v68
	v_add_f16_e32 v47, v20, v49
	v_sub_f16_e32 v20, v20, v49
	v_add_f16_e32 v49, v85, v52
	v_sub_f16_e32 v52, v85, v52
	;; [unrolled: 2-line block ×4, first 2 shown]
	v_add_f16_e32 v26, v71, v73
	v_add_f16_e32 v81, v32, v68
	v_sub_f16_e32 v32, v32, v68
	v_add_f16_e32 v68, v37, v69
	v_sub_f16_e32 v69, v37, v69
	v_fma_f16 v26, v26, -0.5, v17
	v_sub_f16_e32 v37, v50, v46
	v_fma_f16 v44, v37, s4, v26
	v_fma_f16 v26, v37, s5, v26
	v_add_f16_e32 v37, v80, v50
	v_add_f16_e32 v37, v37, v46
	;; [unrolled: 1-line block ×3, first 2 shown]
	v_fma_f16 v46, v46, -0.5, v80
	v_sub_f16_e32 v50, v71, v73
	v_add_f16_e32 v17, v17, v71
	v_fma_f16 v71, v50, s5, v46
	v_fma_f16 v46, v50, s4, v46
	v_add_f16_e32 v50, v72, v63
	v_add_f16_e32 v17, v17, v73
	v_fma_f16 v50, v50, -0.5, v70
	v_sub_f16_e32 v73, v45, v27
	v_fma_f16 v80, v73, s4, v50
	v_fma_f16 v50, v73, s5, v50
	v_add_f16_e32 v73, v48, v45
	v_add_f16_e32 v73, v73, v27
	;; [unrolled: 1-line block ×3, first 2 shown]
	v_fma_f16 v27, v27, -0.5, v48
	v_add_f16_e32 v45, v70, v72
	v_sub_f16_e32 v48, v72, v63
	v_add_f16_e32 v45, v45, v63
	v_fma_f16 v63, v48, s5, v27
	v_fma_f16 v27, v48, s4, v27
	v_mul_f16_e32 v48, 0xbaee, v63
	v_mul_f16_e32 v63, 0.5, v63
	v_mul_f16_e32 v70, 0xbaee, v27
	v_mul_f16_e32 v27, -0.5, v27
	v_fma_f16 v48, v80, 0.5, v48
	v_fma_f16 v63, v80, s5, v63
	v_fma_f16 v70, v50, -0.5, v70
	v_fma_f16 v27, v50, s5, v27
	v_add_f16_e32 v50, v17, v45
	v_sub_f16_e32 v17, v17, v45
	v_add_f16_e32 v45, v44, v48
	v_sub_f16_e32 v44, v44, v48
	;; [unrolled: 2-line block ×6, first 2 shown]
	v_mov_b32_e32 v27, 0x4b0
	v_cndmask_b32_e64 v27, 0, v27, s[0:1]
	v_add3_u32 v80, 0, v27, v18
	v_lshlrev_b32_e32 v18, 1, v24
	v_add3_u32 v24, 0, v16, v18
	v_mul_u32_u24_e32 v16, 0x4b0, v28
	v_lshlrev_b32_e32 v18, 1, v29
	s_barrier
	ds_write_b16 v80, v39
	ds_write_b16 v80, v36 offset:200
	ds_write_b16 v80, v84 offset:400
	ds_write_b16 v80, v25 offset:600
	ds_write_b16 v80, v38 offset:800
	ds_write_b16 v80, v74 offset:1000
	ds_write_b16 v2, v43
	ds_write_b16 v2, v40 offset:200
	ds_write_b16 v2, v75 offset:400
	ds_write_b16 v2, v22 offset:600
	ds_write_b16 v2, v42 offset:800
	ds_write_b16 v2, v35 offset:1000
	;; [unrolled: 6-line block ×3, first 2 shown]
	v_add3_u32 v53, 0, v16, v18
	v_mul_u32_u24_e32 v16, 0x4b0, v30
	v_lshlrev_b32_e32 v18, 1, v31
	ds_write_b16 v53, v47
	ds_write_b16 v53, v49 offset:200
	ds_write_b16 v53, v81 offset:400
	;; [unrolled: 1-line block ×5, first 2 shown]
	v_add3_u32 v47, 0, v16, v18
	ds_write_b16 v47, v50
	ds_write_b16 v47, v45 offset:200
	ds_write_b16 v47, v48 offset:400
	;; [unrolled: 1-line block ×5, first 2 shown]
	s_waitcnt lgkmcnt(0)
	s_barrier
	ds_read_u16 v40, v10 offset:6480
	ds_read_u16 v16, v10
	ds_read_u16 v19, v10 offset:1200
	ds_read_u16 v29, v10 offset:1440
	;; [unrolled: 1-line block ×23, first 2 shown]
	ds_read_u16 v38, v14
	ds_read_u16 v28, v13
	;; [unrolled: 1-line block ×4, first 2 shown]
	ds_read_u16 v13, v10 offset:6960
	s_waitcnt lgkmcnt(0)
	s_barrier
	ds_write_b16 v80, v76
	ds_write_b16 v80, v83 offset:200
	ds_write_b16 v80, v62 offset:400
	ds_write_b16 v80, v77 offset:600
	ds_write_b16 v80, v61 offset:800
	ds_write_b16 v80, v86 offset:1000
	ds_write_b16 v2, v59
	ds_write_b16 v2, v79 offset:200
	ds_write_b16 v2, v58 offset:400
	ds_write_b16 v2, v60 offset:600
	ds_write_b16 v2, v57 offset:800
	ds_write_b16 v2, v87 offset:1000
	;; [unrolled: 6-line block ×5, first 2 shown]
	s_waitcnt lgkmcnt(0)
	s_barrier
	s_and_saveexec_b64 s[0:1], vcc
	s_cbranch_execz .LBB0_15
; %bb.14:
	v_mul_i32_i24_e32 v2, 5, v8
	v_lshlrev_b64 v[46:47], 2, v[2:3]
	v_mov_b32_e32 v51, s9
	v_add_co_u32_e32 v46, vcc, s8, v46
	v_addc_co_u32_e32 v47, vcc, v51, v47, vcc
	global_load_dwordx4 v[52:55], v[46:47], off offset:2360
	global_load_dword v8, v[46:47], off offset:2376
	v_mul_i32_i24_e32 v2, 5, v5
	ds_read_u16 v24, v15
	ds_read_u16 v48, v12
	ds_read_u16 v12, v10 offset:4560
	ds_read_u16 v50, v10 offset:4320
	;; [unrolled: 1-line block ×7, first 2 shown]
	v_lshlrev_b64 v[14:15], 2, v[2:3]
	v_mul_i32_i24_e32 v62, 0xffffffee, v7
	v_add_co_u32_e32 v14, vcc, s8, v14
	v_addc_co_u32_e32 v15, vcc, v51, v15, vcc
	global_load_dwordx4 v[56:59], v[14:15], off offset:2360
	ds_read_u16 v66, v10 offset:6480
	ds_read_u16 v67, v10 offset:6240
	ds_read_u16 v68, v10 offset:6000
	ds_read_u16 v2, v10 offset:5760
	ds_read_u16 v61, v10 offset:5520
	ds_read_u16 v69, v10 offset:2640
	ds_read_u16 v70, v10 offset:2400
	ds_read_u16 v5, v10 offset:2160
	ds_read_u16 v71, v10 offset:1920
	ds_read_u16 v47, v10 offset:6960
	ds_read_u16 v72, v10 offset:6720
	global_load_dword v73, v[14:15], off offset:2376
	v_mul_i32_i24_e32 v49, 0xffffffee, v6
	s_waitcnt vmcnt(3)
	v_mul_f16_sdwa v14, v21, v53 dst_sel:DWORD dst_unused:UNUSED_PAD src0_sel:DWORD src1_sel:WORD_1
	v_mul_f16_sdwa v15, v22, v55 dst_sel:DWORD dst_unused:UNUSED_PAD src0_sel:DWORD src1_sel:WORD_1
	s_waitcnt lgkmcnt(12)
	v_mul_f16_sdwa v74, v46, v53 dst_sel:DWORD dst_unused:UNUSED_PAD src0_sel:DWORD src1_sel:WORD_1
	s_waitcnt lgkmcnt(7)
	v_mul_f16_sdwa v75, v2, v55 dst_sel:DWORD dst_unused:UNUSED_PAD src0_sel:DWORD src1_sel:WORD_1
	v_mul_f16_sdwa v77, v54, v12 dst_sel:DWORD dst_unused:UNUSED_PAD src0_sel:WORD_1 src1_sel:DWORD
	s_waitcnt vmcnt(2) lgkmcnt(1)
	v_mul_f16_sdwa v78, v8, v47 dst_sel:DWORD dst_unused:UNUSED_PAD src0_sel:WORD_1 src1_sel:DWORD
	v_mul_f16_sdwa v79, v20, v54 dst_sel:DWORD dst_unused:UNUSED_PAD src0_sel:DWORD src1_sel:WORD_1
	v_mul_f16_sdwa v80, v13, v8 dst_sel:DWORD dst_unused:UNUSED_PAD src0_sel:DWORD src1_sel:WORD_1
	v_mul_f16_sdwa v76, v52, v5 dst_sel:DWORD dst_unused:UNUSED_PAD src0_sel:WORD_1 src1_sel:DWORD
	v_mul_f16_sdwa v81, v18, v52 dst_sel:DWORD dst_unused:UNUSED_PAD src0_sel:DWORD src1_sel:WORD_1
	v_fma_f16 v14, v53, v46, -v14
	v_fma_f16 v2, v55, v2, -v15
	v_fma_f16 v15, v21, v53, v74
	v_fma_f16 v21, v22, v55, v75
	;; [unrolled: 1-line block ×4, first 2 shown]
	v_fma_f16 v12, v54, v12, -v79
	v_fma_f16 v8, v8, v47, -v80
	v_fma_f16 v18, v18, v52, v76
	v_fma_f16 v5, v52, v5, -v81
	v_add_f16_e32 v13, v14, v2
	v_add_f16_e32 v47, v20, v22
	;; [unrolled: 1-line block ×3, first 2 shown]
	v_sub_f16_e32 v46, v15, v21
	v_sub_f16_e32 v52, v12, v8
	v_sub_f16_e32 v54, v20, v22
	v_add_f16_e32 v55, v24, v14
	v_add_f16_e32 v12, v5, v12
	;; [unrolled: 1-line block ×3, first 2 shown]
	v_sub_f16_e32 v75, v14, v2
	v_fma_f16 v13, v13, -0.5, v24
	v_fma_f16 v14, v47, -0.5, v18
	;; [unrolled: 1-line block ×3, first 2 shown]
	v_add_f16_e32 v24, v12, v8
	v_fma_f16 v47, v74, -0.5, v17
	v_fma_f16 v53, v46, s4, v13
	v_fma_f16 v8, v52, s5, v14
	;; [unrolled: 1-line block ×5, first 2 shown]
	v_add_f16_e32 v15, v17, v15
	v_add_f16_e32 v2, v55, v2
	v_fma_f16 v12, v54, s4, v5
	v_fma_f16 v54, v75, s5, v47
	v_mul_f16_e32 v55, 0.5, v52
	v_fma_f16 v47, v75, s4, v47
	v_mul_f16_e32 v52, 0xbaee, v52
	v_add_f16_e32 v75, v15, v21
	v_add_f16_e32 v15, v18, v20
	v_sub_f16_e32 v14, v2, v24
	v_mul_f16_e32 v5, -0.5, v12
	v_mul_f16_e32 v12, 0xbaee, v12
	v_fma_f16 v55, v13, s5, v55
	v_fma_f16 v52, v13, 0.5, v52
	v_add_f16_e32 v77, v15, v22
	v_add_f16_e32 v22, v2, v24
	v_mul_i32_i24_e32 v2, 5, v7
	v_fma_f16 v76, v8, -0.5, v12
	v_sub_f16_e32 v12, v46, v55
	v_sub_f16_e32 v13, v47, v52
	v_add_f16_e32 v20, v46, v55
	v_add_f16_e32 v21, v47, v52
	v_lshlrev_b64 v[46:47], 2, v[2:3]
	v_fma_f16 v74, v8, s5, v5
	v_add_co_u32_e32 v46, vcc, s8, v46
	v_addc_co_u32_e32 v47, vcc, v51, v47, vcc
	v_sub_f16_e32 v5, v53, v74
	v_sub_f16_e32 v8, v54, v76
	v_add_f16_e32 v17, v53, v74
	v_add_f16_e32 v18, v54, v76
	global_load_dwordx4 v[52:55], v[46:47], off offset:2360
	global_load_dword v79, v[46:47], off offset:2376
	s_waitcnt vmcnt(3)
	v_mul_f16_sdwa v74, v37, v57 dst_sel:DWORD dst_unused:UNUSED_PAD src0_sel:DWORD src1_sel:WORD_1
	v_mul_f16_sdwa v7, v45, v59 dst_sel:DWORD dst_unused:UNUSED_PAD src0_sel:DWORD src1_sel:WORD_1
	v_fma_f16 v2, v57, v60, -v74
	v_fma_f16 v76, v59, v61, -v7
	v_add_f16_e32 v7, v2, v76
	v_sub_f16_e32 v15, v75, v77
	v_add_f16_e32 v24, v75, v77
	v_fma_f16 v77, v7, -0.5, v48
	v_mul_f16_sdwa v7, v60, v57 dst_sel:DWORD dst_unused:UNUSED_PAD src0_sel:DWORD src1_sel:WORD_1
	v_fma_f16 v57, v37, v57, v7
	v_mul_f16_sdwa v7, v61, v59 dst_sel:DWORD dst_unused:UNUSED_PAD src0_sel:DWORD src1_sel:WORD_1
	v_fma_f16 v45, v45, v59, v7
	v_mul_f16_sdwa v7, v56, v71 dst_sel:DWORD dst_unused:UNUSED_PAD src0_sel:WORD_1 src1_sel:DWORD
	v_fma_f16 v60, v34, v56, v7
	v_mul_f16_sdwa v7, v58, v50 dst_sel:DWORD dst_unused:UNUSED_PAD src0_sel:WORD_1 src1_sel:DWORD
	v_fma_f16 v61, v36, v58, v7
	s_waitcnt vmcnt(2) lgkmcnt(0)
	v_mul_f16_sdwa v7, v73, v72 dst_sel:DWORD dst_unused:UNUSED_PAD src0_sel:WORD_1 src1_sel:DWORD
	v_fma_f16 v46, v35, v73, v7
	v_add_f16_e32 v7, v61, v46
	v_fma_f16 v47, v7, -0.5, v60
	v_mul_f16_sdwa v7, v36, v58 dst_sel:DWORD dst_unused:UNUSED_PAD src0_sel:DWORD src1_sel:WORD_1
	v_fma_f16 v36, v58, v50, -v7
	v_mul_f16_sdwa v7, v35, v73 dst_sel:DWORD dst_unused:UNUSED_PAD src0_sel:DWORD src1_sel:WORD_1
	v_fma_f16 v50, v73, v72, -v7
	v_mul_f16_sdwa v7, v34, v56 dst_sel:DWORD dst_unused:UNUSED_PAD src0_sel:DWORD src1_sel:WORD_1
	v_fma_f16 v34, v56, v71, -v7
	v_add_f16_e32 v7, v36, v50
	v_fma_f16 v56, v7, -0.5, v34
	v_add_f16_e32 v34, v34, v36
	v_sub_f16_e32 v37, v57, v45
	v_sub_f16_e32 v35, v36, v50
	;; [unrolled: 1-line block ×3, first 2 shown]
	v_add_f16_e32 v50, v34, v50
	v_add_f16_e32 v34, v57, v45
	v_fma_f16 v59, v37, s4, v77
	v_fma_f16 v72, v71, s4, v56
	;; [unrolled: 1-line block ×4, first 2 shown]
	v_add_f16_e32 v37, v48, v2
	v_fma_f16 v36, v34, -0.5, v41
	v_sub_f16_e32 v2, v2, v76
	v_fma_f16 v58, v35, s5, v47
	v_fma_f16 v47, v35, s4, v47
	v_add_f16_e32 v48, v37, v76
	v_fma_f16 v76, v2, s5, v36
	v_fma_f16 v2, v2, s4, v36
	v_mul_f16_e32 v36, 0xbaee, v56
	v_mul_f16_e32 v35, 0.5, v56
	v_fma_f16 v56, v47, 0.5, v36
	v_sub_f16_e32 v37, v48, v50
	v_sub_f16_e32 v36, v2, v56
	v_add_f16_e32 v50, v48, v50
	v_add_f16_e32 v48, v2, v56
	v_mul_i32_i24_e32 v2, 5, v6
	v_lshlrev_b64 v[2:3], 2, v[2:3]
	ds_read_u16 v75, v10 offset:2880
	v_add_f16_e32 v41, v41, v57
	ds_read_u16 v74, v10 offset:5280
	v_mul_f16_e32 v7, -0.5, v72
	v_mul_f16_e32 v34, 0xbaee, v72
	v_add_f16_e32 v72, v41, v45
	v_add_f16_e32 v41, v60, v61
	v_add_co_u32_e32 v60, vcc, s8, v2
	v_addc_co_u32_e32 v61, vcc, v51, v3, vcc
	v_add_u32_e32 v3, v11, v62
	ds_read_u16 v62, v10 offset:5040
	v_add_f16_e32 v80, v41, v46
	ds_read_u16 v6, v3
	ds_read_u16 v78, v10 offset:1680
	v_sub_f16_e32 v41, v72, v80
	v_add_f16_e32 v2, v72, v80
	ds_read_u16 v72, v10 offset:1440
	v_fma_f16 v71, v47, s5, v35
	v_sub_f16_e32 v35, v77, v71
	v_add_f16_e32 v47, v77, v71
	v_fma_f16 v73, v58, s5, v7
	s_waitcnt vmcnt(1)
	v_mul_f16_sdwa v3, v43, v53 dst_sel:DWORD dst_unused:UNUSED_PAD src0_sel:DWORD src1_sel:WORD_1
	s_waitcnt lgkmcnt(5)
	v_fma_f16 v11, v53, v75, -v3
	v_mul_f16_sdwa v3, v44, v55 dst_sel:DWORD dst_unused:UNUSED_PAD src0_sel:DWORD src1_sel:WORD_1
	s_waitcnt lgkmcnt(4)
	v_fma_f16 v51, v55, v74, -v3
	v_add_f16_e32 v3, v11, v51
	s_waitcnt lgkmcnt(2)
	v_fma_f16 v71, v3, -0.5, v6
	v_mul_f16_sdwa v3, v75, v53 dst_sel:DWORD dst_unused:UNUSED_PAD src0_sel:DWORD src1_sel:WORD_1
	v_fma_f16 v43, v43, v53, v3
	v_mul_f16_sdwa v3, v74, v55 dst_sel:DWORD dst_unused:UNUSED_PAD src0_sel:DWORD src1_sel:WORD_1
	v_fma_f16 v44, v44, v55, v3
	s_waitcnt lgkmcnt(1)
	v_mul_f16_sdwa v3, v52, v78 dst_sel:DWORD dst_unused:UNUSED_PAD src0_sel:WORD_1 src1_sel:DWORD
	v_sub_f16_e32 v7, v59, v73
	v_fma_f16 v58, v58, -0.5, v34
	v_add_f16_e32 v45, v59, v73
	v_fma_f16 v73, v39, v52, v3
	v_mul_f16_sdwa v3, v54, v63 dst_sel:DWORD dst_unused:UNUSED_PAD src0_sel:WORD_1 src1_sel:DWORD
	v_sub_f16_e32 v34, v76, v58
	v_add_f16_e32 v46, v76, v58
	global_load_dwordx4 v[56:59], v[60:61], off offset:2360
	v_add_f16_e32 v6, v6, v11
	global_load_dword v60, v[60:61], off offset:2376
	v_fma_f16 v61, v42, v54, v3
	s_waitcnt vmcnt(2)
	v_mul_f16_sdwa v3, v79, v66 dst_sel:DWORD dst_unused:UNUSED_PAD src0_sel:WORD_1 src1_sel:DWORD
	v_fma_f16 v74, v40, v79, v3
	v_add_f16_e32 v3, v61, v74
	v_fma_f16 v75, v3, -0.5, v73
	v_mul_f16_sdwa v3, v42, v54 dst_sel:DWORD dst_unused:UNUSED_PAD src0_sel:DWORD src1_sel:WORD_1
	v_fma_f16 v42, v54, v63, -v3
	v_mul_f16_sdwa v3, v40, v79 dst_sel:DWORD dst_unused:UNUSED_PAD src0_sel:DWORD src1_sel:WORD_1
	v_fma_f16 v40, v79, v66, -v3
	;; [unrolled: 2-line block ×3, first 2 shown]
	v_add_f16_e32 v3, v42, v40
	v_fma_f16 v52, v3, -0.5, v39
	v_sub_f16_e32 v66, v61, v74
	v_sub_f16_e32 v54, v42, v40
	v_fma_f16 v76, v66, s4, v52
	v_fma_f16 v63, v54, s5, v75
	v_mul_f16_e32 v3, -0.5, v76
	v_add_f16_e32 v6, v6, v51
	v_add_f16_e32 v39, v39, v42
	;; [unrolled: 1-line block ×3, first 2 shown]
	v_sub_f16_e32 v11, v11, v51
	v_mul_f16_e32 v51, 0xbaee, v76
	v_sub_f16_e32 v53, v43, v44
	v_fma_f16 v77, v63, s5, v3
	v_fma_f16 v52, v66, s5, v52
	v_fma_f16 v42, v42, -0.5, v38
	v_fma_f16 v63, v63, -0.5, v51
	v_mul_u32_u24_e32 v51, 5, v4
	v_fma_f16 v55, v53, s4, v71
	v_fma_f16 v71, v53, s5, v71
	;; [unrolled: 1-line block ×3, first 2 shown]
	v_mul_f16_e32 v54, 0.5, v52
	v_fma_f16 v78, v11, s5, v42
	v_fma_f16 v11, v11, s4, v42
	v_mul_f16_e32 v42, 0xbaee, v52
	v_add_f16_e32 v38, v38, v43
	v_add_f16_e32 v43, v73, v61
	v_lshlrev_b32_e32 v61, 2, v51
	v_fma_f16 v66, v53, s5, v54
	v_fma_f16 v42, v53, 0.5, v42
	global_load_dwordx4 v[51:54], v61, s[8:9] offset:2360
	v_add_f16_e32 v39, v39, v40
	global_load_dword v61, v61, s[8:9] offset:2376
	v_sub_f16_e32 v40, v6, v39
	v_add_f16_e32 v39, v6, v39
	v_add_u32_e32 v6, v9, v49
	v_sub_f16_e32 v75, v71, v66
	v_add_f16_e32 v66, v71, v66
	ds_read_u16 v6, v6
	v_sub_f16_e32 v79, v11, v42
	v_add_f16_e32 v38, v38, v44
	v_add_f16_e32 v43, v43, v74
	;; [unrolled: 1-line block ×3, first 2 shown]
	v_sub_f16_e32 v44, v38, v43
	v_add_f16_e32 v38, v38, v43
	ds_read_u16 v43, v10 offset:4800
	v_sub_f16_e32 v3, v55, v77
	v_add_f16_e32 v55, v55, v77
	v_add_co_u32_e32 v0, vcc, s12, v0
	v_sub_f16_e32 v76, v78, v63
	v_add_f16_e32 v63, v78, v63
	v_pack_b32_f16 v3, v76, v3
	v_pack_b32_f16 v14, v15, v14
	s_waitcnt vmcnt(3)
	v_mul_f16_sdwa v9, v33, v57 dst_sel:DWORD dst_unused:UNUSED_PAD src0_sel:DWORD src1_sel:WORD_1
	v_fma_f16 v9, v57, v69, -v9
	v_mul_f16_sdwa v69, v69, v57 dst_sel:DWORD dst_unused:UNUSED_PAD src0_sel:DWORD src1_sel:WORD_1
	v_mul_f16_sdwa v71, v58, v64 dst_sel:DWORD dst_unused:UNUSED_PAD src0_sel:WORD_1 src1_sel:DWORD
	s_waitcnt vmcnt(2)
	v_mul_f16_sdwa v73, v60, v67 dst_sel:DWORD dst_unused:UNUSED_PAD src0_sel:WORD_1 src1_sel:DWORD
	v_fma_f16 v33, v33, v57, v69
	s_waitcnt lgkmcnt(2)
	v_mul_f16_sdwa v69, v56, v72 dst_sel:DWORD dst_unused:UNUSED_PAD src0_sel:WORD_1 src1_sel:DWORD
	v_fma_f16 v71, v31, v58, v71
	v_fma_f16 v73, v32, v60, v73
	v_mul_f16_sdwa v31, v31, v58 dst_sel:DWORD dst_unused:UNUSED_PAD src0_sel:DWORD src1_sel:WORD_1
	v_mul_f16_sdwa v32, v32, v60 dst_sel:DWORD dst_unused:UNUSED_PAD src0_sel:DWORD src1_sel:WORD_1
	v_fma_f16 v69, v29, v56, v69
	v_fma_f16 v31, v58, v64, -v31
	v_fma_f16 v32, v60, v67, -v32
	v_mul_f16_sdwa v29, v29, v56 dst_sel:DWORD dst_unused:UNUSED_PAD src0_sel:DWORD src1_sel:WORD_1
	v_mul_f16_sdwa v57, v62, v59 dst_sel:DWORD dst_unused:UNUSED_PAD src0_sel:DWORD src1_sel:WORD_1
	v_fma_f16 v29, v56, v72, -v29
	v_add_f16_e32 v56, v31, v32
	v_mul_f16_sdwa v11, v30, v59 dst_sel:DWORD dst_unused:UNUSED_PAD src0_sel:DWORD src1_sel:WORD_1
	v_fma_f16 v30, v30, v59, v57
	v_fma_f16 v56, v56, -0.5, v29
	v_add_f16_e32 v29, v29, v31
	v_fma_f16 v11, v59, v62, -v11
	v_sub_f16_e32 v58, v31, v32
	v_add_f16_e32 v29, v29, v32
	v_add_f16_e32 v32, v33, v30
	;; [unrolled: 1-line block ×4, first 2 shown]
	v_sub_f16_e32 v64, v71, v73
	v_fma_f16 v32, v32, -0.5, v28
	v_add_f16_e32 v28, v28, v33
	s_waitcnt lgkmcnt(1)
	v_fma_f16 v49, v49, -0.5, v6
	v_sub_f16_e32 v57, v33, v30
	ds_read_u16 v62, v10
	ds_read_u16 v10, v10 offset:1200
	v_fma_f16 v74, v74, -0.5, v69
	v_fma_f16 v67, v64, s4, v56
	v_fma_f16 v56, v64, s5, v56
	v_add_f16_e32 v6, v6, v9
	v_sub_f16_e32 v9, v9, v11
	v_add_f16_e32 v28, v28, v30
	v_add_f16_e32 v30, v69, v71
	v_fma_f16 v59, v57, s4, v49
	v_fma_f16 v49, v57, s5, v49
	;; [unrolled: 1-line block ×3, first 2 shown]
	v_add_f16_e32 v6, v6, v11
	v_fma_f16 v11, v9, s5, v32
	v_fma_f16 v9, v9, s4, v32
	v_mul_f16_e32 v32, 0xbaee, v56
	v_add_f16_e32 v30, v30, v73
	v_fma_f16 v60, v58, s5, v74
	v_mul_f16_e32 v72, -0.5, v67
	v_fma_f16 v32, v57, 0.5, v32
	v_sub_f16_e32 v33, v28, v30
	v_add_f16_e32 v30, v28, v30
	s_waitcnt vmcnt(1)
	v_mul_f16_sdwa v28, v70, v52 dst_sel:DWORD dst_unused:UNUSED_PAD src0_sel:DWORD src1_sel:WORD_1
	v_fma_f16 v72, v60, s5, v72
	v_mul_f16_e32 v58, 0.5, v56
	v_sub_f16_e32 v31, v6, v29
	v_sub_f16_e32 v56, v9, v32
	v_add_f16_e32 v29, v6, v29
	v_add_f16_e32 v32, v9, v32
	v_mul_f16_sdwa v6, v27, v52 dst_sel:DWORD dst_unused:UNUSED_PAD src0_sel:DWORD src1_sel:WORD_1
	v_mul_f16_sdwa v9, v23, v54 dst_sel:DWORD dst_unused:UNUSED_PAD src0_sel:DWORD src1_sel:WORD_1
	v_fma_f16 v27, v27, v52, v28
	s_waitcnt lgkmcnt(2)
	v_mul_f16_sdwa v28, v43, v54 dst_sel:DWORD dst_unused:UNUSED_PAD src0_sel:DWORD src1_sel:WORD_1
	v_sub_f16_e32 v77, v59, v72
	v_fma_f16 v58, v57, s5, v58
	v_add_f16_e32 v57, v59, v72
	v_fma_f16 v9, v54, v43, -v9
	v_fma_f16 v23, v23, v54, v28
	v_mul_f16_sdwa v54, v53, v65 dst_sel:DWORD dst_unused:UNUSED_PAD src0_sel:WORD_1 src1_sel:DWORD
	s_waitcnt vmcnt(0)
	v_mul_f16_sdwa v59, v61, v68 dst_sel:DWORD dst_unused:UNUSED_PAD src0_sel:WORD_1 src1_sel:DWORD
	v_mul_f16_e32 v67, 0xbaee, v67
	v_fma_f16 v6, v52, v70, -v6
	s_waitcnt lgkmcnt(0)
	v_mul_f16_sdwa v52, v51, v10 dst_sel:DWORD dst_unused:UNUSED_PAD src0_sel:WORD_1 src1_sel:DWORD
	v_fma_f16 v54, v25, v53, v54
	v_fma_f16 v59, v26, v61, v59
	v_mul_f16_sdwa v25, v25, v53 dst_sel:DWORD dst_unused:UNUSED_PAD src0_sel:DWORD src1_sel:WORD_1
	v_mul_f16_sdwa v26, v26, v61 dst_sel:DWORD dst_unused:UNUSED_PAD src0_sel:DWORD src1_sel:WORD_1
	v_fma_f16 v60, v60, -0.5, v67
	v_fma_f16 v52, v19, v51, v52
	v_fma_f16 v25, v53, v65, -v25
	v_fma_f16 v26, v61, v68, -v26
	v_mul_f16_sdwa v19, v19, v51 dst_sel:DWORD dst_unused:UNUSED_PAD src0_sel:DWORD src1_sel:WORD_1
	v_sub_f16_e32 v64, v49, v58
	v_sub_f16_e32 v67, v11, v60
	v_add_f16_e32 v49, v49, v58
	v_add_f16_e32 v58, v11, v60
	;; [unrolled: 1-line block ×4, first 2 shown]
	v_fma_f16 v10, v51, v10, -v19
	v_add_f16_e32 v19, v25, v26
	v_fma_f16 v11, v11, -0.5, v62
	v_sub_f16_e32 v28, v27, v23
	v_fma_f16 v60, v60, -0.5, v52
	v_sub_f16_e32 v53, v25, v26
	;; [unrolled: 2-line block ×3, first 2 shown]
	v_add_f16_e32 v10, v10, v25
	v_fma_f16 v43, v28, s4, v11
	v_fma_f16 v61, v53, s5, v60
	;; [unrolled: 1-line block ×5, first 2 shown]
	v_add_f16_e32 v60, v62, v6
	v_add_f16_e32 v25, v10, v26
	;; [unrolled: 1-line block ×3, first 2 shown]
	v_mul_f16_e32 v68, -0.5, v65
	v_add_f16_e32 v60, v60, v9
	v_fma_f16 v10, v10, -0.5, v16
	v_sub_f16_e32 v6, v6, v9
	v_mul_f16_e32 v9, 0xbaee, v65
	v_fma_f16 v68, v61, s5, v68
	v_fma_f16 v19, v51, s5, v19
	;; [unrolled: 1-line block ×3, first 2 shown]
	v_fma_f16 v61, v61, -0.5, v9
	v_fma_f16 v70, v6, s4, v10
	v_mad_u64_u32 v[9:10], s[0:1], s2, v4, 0
	v_mul_f16_e32 v6, 0xbaee, v19
	v_mul_f16_e32 v51, 0.5, v19
	v_fma_f16 v19, v28, 0.5, v6
	v_add_f16_e32 v6, v16, v27
	v_add_f16_e32 v16, v6, v23
	;; [unrolled: 1-line block ×3, first 2 shown]
	v_fma_f16 v51, v28, s5, v51
	v_add_f16_e32 v23, v6, v59
	v_mov_b32_e32 v6, v10
	v_sub_f16_e32 v53, v11, v51
	v_sub_f16_e32 v52, v16, v23
	v_add_f16_e32 v51, v11, v51
	v_mad_u64_u32 v[10:11], s[0:1], s3, v4, v[6:7]
	v_add_f16_e32 v6, v16, v23
	v_mov_b32_e32 v16, s13
	v_addc_co_u32_e32 v1, vcc, v16, v1, vcc
	v_add_u32_e32 v16, 0x258, v4
	v_sub_f16_e32 v62, v60, v25
	v_sub_f16_e32 v65, v26, v61
	v_add_f16_e32 v27, v60, v25
	v_add_f16_e32 v11, v26, v61
	v_mad_u64_u32 v[25:26], s[0:1], s2, v16, 0
	v_pack_b32_f16 v23, v6, v27
	v_lshlrev_b64 v[9:10], 2, v[9:10]
	v_mov_b32_e32 v6, v26
	v_mad_u64_u32 v[26:27], s[0:1], s3, v16, v[6:7]
	v_add_u32_e32 v16, 0x4b0, v4
	v_mad_u64_u32 v[27:28], s[0:1], s2, v16, 0
	v_add_co_u32_e32 v9, vcc, v0, v9
	v_addc_co_u32_e32 v10, vcc, v1, v10, vcc
	v_mov_b32_e32 v6, v28
	global_store_dword v[9:10], v23, off
	v_lshlrev_b64 v[9:10], 2, v[25:26]
	v_mad_u64_u32 v[25:26], s[0:1], s3, v16, v[6:7]
	v_add_u32_e32 v16, 0x708, v4
	v_sub_f16_e32 v71, v70, v19
	v_mov_b32_e32 v28, v25
	v_mad_u64_u32 v[25:26], s[0:1], s2, v16, 0
	v_add_f16_e32 v19, v70, v19
	v_add_co_u32_e32 v9, vcc, v0, v9
	v_addc_co_u32_e32 v10, vcc, v1, v10, vcc
	v_pack_b32_f16 v6, v19, v51
	global_store_dword v[9:10], v6, off
	v_mov_b32_e32 v6, v26
	v_lshlrev_b64 v[9:10], 2, v[27:28]
	v_mad_u64_u32 v[26:27], s[0:1], s3, v16, v[6:7]
	v_add_u32_e32 v16, 0x960, v4
	v_mad_u64_u32 v[27:28], s[0:1], s2, v16, 0
	v_sub_f16_e32 v69, v43, v68
	v_add_f16_e32 v43, v43, v68
	v_add_co_u32_e32 v9, vcc, v0, v9
	v_addc_co_u32_e32 v10, vcc, v1, v10, vcc
	v_pack_b32_f16 v11, v11, v43
	v_mov_b32_e32 v6, v28
	global_store_dword v[9:10], v11, off
	v_lshlrev_b64 v[9:10], 2, v[25:26]
	v_mad_u64_u32 v[25:26], s[0:1], s3, v16, v[6:7]
	v_add_co_u32_e32 v9, vcc, v0, v9
	v_addc_co_u32_e32 v10, vcc, v1, v10, vcc
	v_pack_b32_f16 v6, v52, v62
	v_mov_b32_e32 v28, v25
	v_add_u32_e32 v11, 0xbb8, v4
	global_store_dword v[9:10], v6, off
	v_lshlrev_b64 v[9:10], 2, v[27:28]
	v_mad_u64_u32 v[25:26], s[0:1], s2, v11, 0
	v_add_co_u32_e32 v9, vcc, v0, v9
	v_addc_co_u32_e32 v10, vcc, v1, v10, vcc
	v_pack_b32_f16 v6, v71, v53
	global_store_dword v[9:10], v6, off
	v_mov_b32_e32 v6, v26
	v_mad_u64_u32 v[9:10], s[0:1], s3, v11, v[6:7]
	v_add_u32_e32 v16, 0x78, v4
	v_mad_u64_u32 v[10:11], s[0:1], s2, v16, 0
	v_mov_b32_e32 v26, v9
	v_lshlrev_b64 v[25:26], 2, v[25:26]
	v_mov_b32_e32 v6, v11
	v_mad_u64_u32 v[27:28], s[4:5], s3, v16, v[6:7]
	v_add_co_u32_e32 v25, vcc, v0, v25
	v_mov_b32_e32 v11, v27
	v_addc_co_u32_e32 v26, vcc, v1, v26, vcc
	v_pack_b32_f16 v6, v65, v69
	v_lshlrev_b64 v[9:10], 2, v[10:11]
	v_add_u32_e32 v11, 0x2d0, v4
	global_store_dword v[25:26], v6, off
	v_mad_u64_u32 v[25:26], s[4:5], s2, v11, 0
	v_add_co_u32_e32 v9, vcc, v0, v9
	v_mov_b32_e32 v6, v26
	v_mad_u64_u32 v[26:27], s[4:5], s3, v11, v[6:7]
	v_add_u32_e32 v11, 0x528, v4
	v_mad_u64_u32 v[27:28], s[4:5], s2, v11, 0
	v_addc_co_u32_e32 v10, vcc, v1, v10, vcc
	v_pack_b32_f16 v16, v30, v29
	v_mov_b32_e32 v6, v28
	global_store_dword v[9:10], v16, off
	v_lshlrev_b64 v[9:10], 2, v[25:26]
	v_mad_u64_u32 v[25:26], s[4:5], s3, v11, v[6:7]
	v_or_b32_e32 v11, 0x780, v4
	v_add_co_u32_e32 v9, vcc, v0, v9
	v_mov_b32_e32 v28, v25
	v_mad_u64_u32 v[25:26], s[4:5], s2, v11, 0
	v_addc_co_u32_e32 v10, vcc, v1, v10, vcc
	v_pack_b32_f16 v6, v32, v49
	global_store_dword v[9:10], v6, off
	v_mov_b32_e32 v6, v26
	v_lshlrev_b64 v[9:10], 2, v[27:28]
	v_mad_u64_u32 v[26:27], s[4:5], s3, v11, v[6:7]
	v_add_u32_e32 v11, 0x9d8, v4
	v_mad_u64_u32 v[27:28], s[4:5], s2, v11, 0
	v_add_co_u32_e32 v9, vcc, v0, v9
	v_addc_co_u32_e32 v10, vcc, v1, v10, vcc
	v_pack_b32_f16 v16, v58, v57
	v_mov_b32_e32 v6, v28
	global_store_dword v[9:10], v16, off
	v_lshlrev_b64 v[9:10], 2, v[25:26]
	v_mad_u64_u32 v[25:26], s[4:5], s3, v11, v[6:7]
	v_add_u32_e32 v11, 0xc30, v4
	v_add_co_u32_e32 v9, vcc, v0, v9
	v_mov_b32_e32 v28, v25
	v_mad_u64_u32 v[25:26], s[4:5], s2, v11, 0
	v_addc_co_u32_e32 v10, vcc, v1, v10, vcc
	v_pack_b32_f16 v6, v33, v31
	global_store_dword v[9:10], v6, off
	v_mov_b32_e32 v6, v26
	v_lshlrev_b64 v[9:10], 2, v[27:28]
	v_mad_u64_u32 v[26:27], s[4:5], s3, v11, v[6:7]
	v_add_u32_e32 v11, 0xf0, v4
	v_mad_u64_u32 v[27:28], s[4:5], s2, v11, 0
	v_add_co_u32_e32 v9, vcc, v0, v9
	v_addc_co_u32_e32 v10, vcc, v1, v10, vcc
	v_pack_b32_f16 v16, v56, v64
	v_mov_b32_e32 v6, v28
	global_store_dword v[9:10], v16, off
	v_lshlrev_b64 v[9:10], 2, v[25:26]
	v_mad_u64_u32 v[25:26], s[4:5], s3, v11, v[6:7]
	v_add_u32_e32 v11, 0x348, v4
	;; [unrolled: 19-line block ×4, first 2 shown]
	v_add_co_u32_e32 v9, vcc, v0, v9
	v_mov_b32_e32 v28, v25
	v_mad_u64_u32 v[25:26], s[4:5], s2, v11, 0
	v_addc_co_u32_e32 v10, vcc, v1, v10, vcc
	v_pack_b32_f16 v6, v44, v40
	global_store_dword v[9:10], v6, off
	v_mov_b32_e32 v6, v26
	v_lshlrev_b64 v[9:10], 2, v[27:28]
	v_mad_u64_u32 v[26:27], s[4:5], s3, v11, v[6:7]
	v_add_u32_e32 v11, 0x168, v4
	v_mad_u64_u32 v[27:28], s[4:5], s2, v11, 0
	v_add_co_u32_e32 v9, vcc, v0, v9
	v_addc_co_u32_e32 v10, vcc, v1, v10, vcc
	v_pack_b32_f16 v16, v79, v75
	global_store_dword v[9:10], v16, off
	v_lshlrev_b64 v[9:10], 2, v[25:26]
	v_mov_b32_e32 v6, v28
	v_mad_u64_u32 v[25:26], s[4:5], s3, v11, v[6:7]
	v_add_co_u32_e32 v9, vcc, v0, v9
	v_addc_co_u32_e32 v10, vcc, v1, v10, vcc
	global_store_dword v[9:10], v3, off
	v_add_u32_e32 v3, 0x3c0, v4
	v_mov_b32_e32 v28, v25
	v_mad_u64_u32 v[25:26], s[4:5], s2, v3, 0
	v_add_u32_e32 v11, 0x618, v4
	v_lshlrev_b64 v[9:10], 2, v[27:28]
	v_mad_u64_u32 v[27:28], s[4:5], s2, v11, 0
	v_add_co_u32_e32 v9, vcc, v0, v9
	v_addc_co_u32_e32 v10, vcc, v1, v10, vcc
	v_pack_b32_f16 v6, v2, v50
	v_mov_b32_e32 v2, v26
	v_mad_u64_u32 v[2:3], s[4:5], s3, v3, v[2:3]
	global_store_dword v[9:10], v6, off
	v_mov_b32_e32 v6, v28
	v_mad_u64_u32 v[9:10], s[4:5], s3, v11, v[6:7]
	v_mov_b32_e32 v26, v2
	v_add_u32_e32 v11, 0x870, v4
	v_lshlrev_b64 v[2:3], 2, v[25:26]
	v_mov_b32_e32 v28, v9
	v_mad_u64_u32 v[9:10], s[4:5], s2, v11, 0
	v_add_co_u32_e32 v2, vcc, v0, v2
	v_addc_co_u32_e32 v3, vcc, v1, v3, vcc
	v_pack_b32_f16 v6, v48, v47
	global_store_dword v[2:3], v6, off
	v_mov_b32_e32 v6, v10
	v_mad_u64_u32 v[10:11], s[4:5], s3, v11, v[6:7]
	v_add_u32_e32 v11, 0xac8, v4
	v_mad_u64_u32 v[25:26], s[4:5], s2, v11, 0
	v_lshlrev_b64 v[2:3], 2, v[27:28]
	v_pack_b32_f16 v16, v46, v45
	v_add_co_u32_e32 v2, vcc, v0, v2
	v_addc_co_u32_e32 v3, vcc, v1, v3, vcc
	v_mov_b32_e32 v6, v26
	global_store_dword v[2:3], v16, off
	v_lshlrev_b64 v[2:3], 2, v[9:10]
	v_mad_u64_u32 v[9:10], s[4:5], s3, v11, v[6:7]
	v_add_u32_e32 v11, 0xd20, v4
	v_add_co_u32_e32 v2, vcc, v0, v2
	v_mov_b32_e32 v26, v9
	v_mad_u64_u32 v[9:10], s[4:5], s2, v11, 0
	v_addc_co_u32_e32 v3, vcc, v1, v3, vcc
	v_pack_b32_f16 v6, v41, v37
	global_store_dword v[2:3], v6, off
	v_mov_b32_e32 v6, v10
	v_add_u32_e32 v4, 0x1e0, v4
	s_mov_b32 s1, 0x1b4e81b5
	v_mad_u64_u32 v[10:11], s[4:5], s3, v11, v[6:7]
	v_mul_hi_u32 v6, v4, s1
	v_lshlrev_b64 v[2:3], 2, v[25:26]
	s_movk_i32 s0, 0xbb8
	v_add_co_u32_e32 v2, vcc, v0, v2
	v_addc_co_u32_e32 v3, vcc, v1, v3, vcc
	v_pack_b32_f16 v16, v36, v35
	v_lshrrev_b32_e32 v6, 6, v6
	global_store_dword v[2:3], v16, off
	v_mad_u32_u24 v16, v6, s0, v4
	v_lshlrev_b64 v[2:3], 2, v[9:10]
	v_mad_u64_u32 v[9:10], s[0:1], s2, v16, 0
	v_pack_b32_f16 v11, v34, v7
	v_add_co_u32_e32 v2, vcc, v0, v2
	v_mov_b32_e32 v4, v10
	v_mad_u64_u32 v[6:7], s[0:1], s3, v16, v[4:5]
	v_add_u32_e32 v7, 0x258, v16
	v_mad_u64_u32 v[25:26], s[0:1], s2, v7, 0
	v_mov_b32_e32 v10, v6
	v_addc_co_u32_e32 v3, vcc, v1, v3, vcc
	v_mov_b32_e32 v4, v26
	v_mad_u64_u32 v[6:7], s[0:1], s3, v7, v[4:5]
	global_store_dword v[2:3], v11, off
	v_lshlrev_b64 v[2:3], 2, v[9:10]
	v_add_u32_e32 v9, 0x4b0, v16
	v_mov_b32_e32 v26, v6
	v_mad_u64_u32 v[6:7], s[0:1], s2, v9, 0
	v_add_co_u32_e32 v2, vcc, v0, v2
	v_addc_co_u32_e32 v3, vcc, v1, v3, vcc
	v_pack_b32_f16 v4, v24, v22
	global_store_dword v[2:3], v4, off
	v_mov_b32_e32 v4, v7
	v_pack_b32_f16 v19, v21, v20
	v_mad_u64_u32 v[9:10], s[0:1], s3, v9, v[4:5]
	v_add_u32_e32 v20, 0x708, v16
	v_mad_u64_u32 v[10:11], s[0:1], s2, v20, 0
	v_lshlrev_b64 v[2:3], 2, v[25:26]
	v_mov_b32_e32 v7, v9
	v_add_co_u32_e32 v2, vcc, v0, v2
	v_addc_co_u32_e32 v3, vcc, v1, v3, vcc
	v_mov_b32_e32 v4, v11
	global_store_dword v[2:3], v19, off
	v_lshlrev_b64 v[2:3], 2, v[6:7]
	v_mad_u64_u32 v[6:7], s[0:1], s3, v20, v[4:5]
	v_add_u32_e32 v9, 0x960, v16
	v_add_co_u32_e32 v2, vcc, v0, v2
	v_mov_b32_e32 v11, v6
	v_mad_u64_u32 v[6:7], s[0:1], s2, v9, 0
	v_addc_co_u32_e32 v3, vcc, v1, v3, vcc
	v_pack_b32_f16 v4, v18, v17
	global_store_dword v[2:3], v4, off
	v_mov_b32_e32 v4, v7
	v_lshlrev_b64 v[2:3], 2, v[10:11]
	v_mad_u64_u32 v[9:10], s[0:1], s3, v9, v[4:5]
	v_add_u32_e32 v15, 0xbb8, v16
	v_mad_u64_u32 v[10:11], s[0:1], s2, v15, 0
	v_add_co_u32_e32 v2, vcc, v0, v2
	v_addc_co_u32_e32 v3, vcc, v1, v3, vcc
	v_mov_b32_e32 v7, v9
	v_mov_b32_e32 v4, v11
	global_store_dword v[2:3], v14, off
	v_lshlrev_b64 v[2:3], 2, v[6:7]
	v_mad_u64_u32 v[6:7], s[0:1], s3, v15, v[4:5]
	v_add_co_u32_e32 v2, vcc, v0, v2
	v_addc_co_u32_e32 v3, vcc, v1, v3, vcc
	v_pack_b32_f16 v4, v13, v12
	v_mov_b32_e32 v11, v6
	global_store_dword v[2:3], v4, off
	v_lshlrev_b64 v[2:3], 2, v[10:11]
	v_add_co_u32_e32 v0, vcc, v0, v2
	v_addc_co_u32_e32 v1, vcc, v1, v3, vcc
	v_pack_b32_f16 v2, v8, v5
	global_store_dword v[0:1], v2, off
.LBB0_15:
	s_endpgm
	.section	.rodata,"a",@progbits
	.p2align	6, 0x0
	.amdhsa_kernel fft_rtc_back_len3600_factors_10_10_6_6_wgs_120_tpt_120_halfLds_half_ip_CI_sbrr_dirReg
		.amdhsa_group_segment_fixed_size 0
		.amdhsa_private_segment_fixed_size 0
		.amdhsa_kernarg_size 88
		.amdhsa_user_sgpr_count 6
		.amdhsa_user_sgpr_private_segment_buffer 1
		.amdhsa_user_sgpr_dispatch_ptr 0
		.amdhsa_user_sgpr_queue_ptr 0
		.amdhsa_user_sgpr_kernarg_segment_ptr 1
		.amdhsa_user_sgpr_dispatch_id 0
		.amdhsa_user_sgpr_flat_scratch_init 0
		.amdhsa_user_sgpr_private_segment_size 0
		.amdhsa_uses_dynamic_stack 0
		.amdhsa_system_sgpr_private_segment_wavefront_offset 0
		.amdhsa_system_sgpr_workgroup_id_x 1
		.amdhsa_system_sgpr_workgroup_id_y 0
		.amdhsa_system_sgpr_workgroup_id_z 0
		.amdhsa_system_sgpr_workgroup_info 0
		.amdhsa_system_vgpr_workitem_id 0
		.amdhsa_next_free_vgpr 110
		.amdhsa_next_free_sgpr 24
		.amdhsa_reserve_vcc 1
		.amdhsa_reserve_flat_scratch 0
		.amdhsa_float_round_mode_32 0
		.amdhsa_float_round_mode_16_64 0
		.amdhsa_float_denorm_mode_32 3
		.amdhsa_float_denorm_mode_16_64 3
		.amdhsa_dx10_clamp 1
		.amdhsa_ieee_mode 1
		.amdhsa_fp16_overflow 0
		.amdhsa_exception_fp_ieee_invalid_op 0
		.amdhsa_exception_fp_denorm_src 0
		.amdhsa_exception_fp_ieee_div_zero 0
		.amdhsa_exception_fp_ieee_overflow 0
		.amdhsa_exception_fp_ieee_underflow 0
		.amdhsa_exception_fp_ieee_inexact 0
		.amdhsa_exception_int_div_zero 0
	.end_amdhsa_kernel
	.text
.Lfunc_end0:
	.size	fft_rtc_back_len3600_factors_10_10_6_6_wgs_120_tpt_120_halfLds_half_ip_CI_sbrr_dirReg, .Lfunc_end0-fft_rtc_back_len3600_factors_10_10_6_6_wgs_120_tpt_120_halfLds_half_ip_CI_sbrr_dirReg
                                        ; -- End function
	.section	.AMDGPU.csdata,"",@progbits
; Kernel info:
; codeLenInByte = 19672
; NumSgprs: 28
; NumVgprs: 110
; ScratchSize: 0
; MemoryBound: 0
; FloatMode: 240
; IeeeMode: 1
; LDSByteSize: 0 bytes/workgroup (compile time only)
; SGPRBlocks: 3
; VGPRBlocks: 27
; NumSGPRsForWavesPerEU: 28
; NumVGPRsForWavesPerEU: 110
; Occupancy: 2
; WaveLimiterHint : 1
; COMPUTE_PGM_RSRC2:SCRATCH_EN: 0
; COMPUTE_PGM_RSRC2:USER_SGPR: 6
; COMPUTE_PGM_RSRC2:TRAP_HANDLER: 0
; COMPUTE_PGM_RSRC2:TGID_X_EN: 1
; COMPUTE_PGM_RSRC2:TGID_Y_EN: 0
; COMPUTE_PGM_RSRC2:TGID_Z_EN: 0
; COMPUTE_PGM_RSRC2:TIDIG_COMP_CNT: 0
	.type	__hip_cuid_ec77b29fb785da4d,@object ; @__hip_cuid_ec77b29fb785da4d
	.section	.bss,"aw",@nobits
	.globl	__hip_cuid_ec77b29fb785da4d
__hip_cuid_ec77b29fb785da4d:
	.byte	0                               ; 0x0
	.size	__hip_cuid_ec77b29fb785da4d, 1

	.ident	"AMD clang version 19.0.0git (https://github.com/RadeonOpenCompute/llvm-project roc-6.4.0 25133 c7fe45cf4b819c5991fe208aaa96edf142730f1d)"
	.section	".note.GNU-stack","",@progbits
	.addrsig
	.addrsig_sym __hip_cuid_ec77b29fb785da4d
	.amdgpu_metadata
---
amdhsa.kernels:
  - .args:
      - .actual_access:  read_only
        .address_space:  global
        .offset:         0
        .size:           8
        .value_kind:     global_buffer
      - .offset:         8
        .size:           8
        .value_kind:     by_value
      - .actual_access:  read_only
        .address_space:  global
        .offset:         16
        .size:           8
        .value_kind:     global_buffer
      - .actual_access:  read_only
        .address_space:  global
        .offset:         24
        .size:           8
        .value_kind:     global_buffer
      - .offset:         32
        .size:           8
        .value_kind:     by_value
      - .actual_access:  read_only
        .address_space:  global
        .offset:         40
        .size:           8
        .value_kind:     global_buffer
      - .actual_access:  read_only
        .address_space:  global
        .offset:         48
        .size:           8
        .value_kind:     global_buffer
      - .offset:         56
        .size:           4
        .value_kind:     by_value
      - .actual_access:  read_only
        .address_space:  global
        .offset:         64
        .size:           8
        .value_kind:     global_buffer
      - .actual_access:  read_only
        .address_space:  global
        .offset:         72
        .size:           8
        .value_kind:     global_buffer
      - .address_space:  global
        .offset:         80
        .size:           8
        .value_kind:     global_buffer
    .group_segment_fixed_size: 0
    .kernarg_segment_align: 8
    .kernarg_segment_size: 88
    .language:       OpenCL C
    .language_version:
      - 2
      - 0
    .max_flat_workgroup_size: 120
    .name:           fft_rtc_back_len3600_factors_10_10_6_6_wgs_120_tpt_120_halfLds_half_ip_CI_sbrr_dirReg
    .private_segment_fixed_size: 0
    .sgpr_count:     28
    .sgpr_spill_count: 0
    .symbol:         fft_rtc_back_len3600_factors_10_10_6_6_wgs_120_tpt_120_halfLds_half_ip_CI_sbrr_dirReg.kd
    .uniform_work_group_size: 1
    .uses_dynamic_stack: false
    .vgpr_count:     110
    .vgpr_spill_count: 0
    .wavefront_size: 64
amdhsa.target:   amdgcn-amd-amdhsa--gfx906
amdhsa.version:
  - 1
  - 2
...

	.end_amdgpu_metadata
